;; amdgpu-corpus repo=LLNL/RAJAPerf kind=compiled arch=gfx1250 opt=O3
	.amdgcn_target "amdgcn-amd-amdhsa--gfx1250"
	.amdhsa_code_object_version 6
	.section	.text._ZN8rajaperf4apps10FEMSweep3DILm64EEEvPdS2_S2_S2_S2_S2_lllPlS3_S3_S3_S3_S3_S3_S3_S3_,"axG",@progbits,_ZN8rajaperf4apps10FEMSweep3DILm64EEEvPdS2_S2_S2_S2_S2_lllPlS3_S3_S3_S3_S3_S3_S3_S3_,comdat
	.protected	_ZN8rajaperf4apps10FEMSweep3DILm64EEEvPdS2_S2_S2_S2_S2_lllPlS3_S3_S3_S3_S3_S3_S3_S3_ ; -- Begin function _ZN8rajaperf4apps10FEMSweep3DILm64EEEvPdS2_S2_S2_S2_S2_lllPlS3_S3_S3_S3_S3_S3_S3_S3_
	.globl	_ZN8rajaperf4apps10FEMSweep3DILm64EEEvPdS2_S2_S2_S2_S2_lllPlS3_S3_S3_S3_S3_S3_S3_S3_
	.p2align	8
	.type	_ZN8rajaperf4apps10FEMSweep3DILm64EEEvPdS2_S2_S2_S2_S2_lllPlS3_S3_S3_S3_S3_S3_S3_S3_,@function
_ZN8rajaperf4apps10FEMSweep3DILm64EEEvPdS2_S2_S2_S2_S2_lllPlS3_S3_S3_S3_S3_S3_S3_S3_: ; @_ZN8rajaperf4apps10FEMSweep3DILm64EEEvPdS2_S2_S2_S2_S2_lllPlS3_S3_S3_S3_S3_S3_S3_S3_
; %bb.0:
	s_clause 0x1
	s_load_b512 s[8:23], s[0:1], 0x0
	s_load_b512 s[36:51], s[0:1], 0x40
	s_bfe_u32 s2, ttmp6, 0x40010
	s_bfe_u32 s3, ttmp6, 0x40004
	s_add_co_i32 s2, s2, 1
	s_getreg_b32 s24, hwreg(HW_REG_IB_STS2, 6, 4)
	s_mul_i32 s2, ttmp7, s2
	s_mov_b32 s7, 0
	s_add_co_i32 s3, s3, s2
	s_cmp_eq_u32 s24, 0
	s_cselect_b32 s6, ttmp7, s3
	s_wait_kmcnt 0x0
	s_mul_u64 s[4:5], s[20:21], s[6:7]
	s_delay_alu instid0(SALU_CYCLE_1) | instskip(NEXT) | instid1(SALU_CYCLE_1)
	s_lshl_b64 s[2:3], s[4:5], 3
	s_add_nc_u64 s[28:29], s[44:45], s[2:3]
	s_load_b64 s[2:3], s[28:29], 0x0
	s_wait_kmcnt 0x0
	s_add_nc_u64 s[2:3], s[2:3], s[4:5]
	s_delay_alu instid0(SALU_CYCLE_1) | instskip(NEXT) | instid1(SALU_CYCLE_1)
	s_lshl_b64 s[2:3], s[2:3], 9
	s_add_nc_u64 s[2:3], s[10:11], s[2:3]
	s_load_b64 s[2:3], s[2:3], 0x0
	s_wait_kmcnt 0x0
	v_cmp_ngt_f64_e64 s25, 0x41d00000, |s[2:3]|
	s_and_b32 vcc_lo, exec_lo, s25
	s_cbranch_vccz .LBB0_2
; %bb.1:
	v_ldexp_f64 v[2:3], |s[2:3]|, 0xffffff80
	v_cmp_le_f64_e64 vcc_lo, 0x7b000000, |s[2:3]|
	v_trig_preop_f64 v[4:5], |s[2:3]|, 0
	s_and_b32 s25, s3, 0x7fffffff
	v_trig_preop_f64 v[6:7], |s[2:3]|, 1
	v_trig_preop_f64 v[16:17], |s[2:3]|, 2
	s_mov_b32 s26, s7
	v_cndmask_b32_e32 v3, s25, v3, vcc_lo
	v_cndmask_b32_e32 v2, s2, v2, vcc_lo
	s_delay_alu instid0(VALU_DEP_1) | instskip(SKIP_1) | instid1(VALU_DEP_2)
	v_mul_f64_e32 v[8:9], v[4:5], v[2:3]
	v_mul_f64_e32 v[10:11], v[6:7], v[2:3]
	v_fma_f64 v[4:5], v[4:5], v[2:3], -v[8:9]
	s_delay_alu instid0(VALU_DEP_1) | instskip(NEXT) | instid1(VALU_DEP_1)
	v_add_f64_e32 v[12:13], v[10:11], v[4:5]
	v_add_f64_e64 v[14:15], v[12:13], -v[10:11]
	v_add_f64_e32 v[20:21], v[8:9], v[12:13]
	v_fma_f64 v[6:7], v[6:7], v[2:3], -v[10:11]
	v_mul_f64_e32 v[22:23], v[16:17], v[2:3]
	s_delay_alu instid0(VALU_DEP_4) | instskip(SKIP_2) | instid1(VALU_DEP_4)
	v_add_f64_e64 v[18:19], v[12:13], -v[14:15]
	v_add_f64_e64 v[4:5], v[4:5], -v[14:15]
	v_ldexp_f64 v[14:15], v[20:21], -2
	v_fma_f64 v[2:3], v[16:17], v[2:3], -v[22:23]
	s_delay_alu instid0(VALU_DEP_4) | instskip(SKIP_1) | instid1(VALU_DEP_4)
	v_add_f64_e64 v[10:11], v[10:11], -v[18:19]
	v_add_f64_e32 v[18:19], v[22:23], v[6:7]
	v_cmp_neq_f64_e64 vcc_lo, 0x7ff00000, |v[14:15]|
	s_delay_alu instid0(VALU_DEP_3) | instskip(SKIP_1) | instid1(VALU_DEP_1)
	v_add_f64_e32 v[4:5], v[4:5], v[10:11]
	v_fract_f64_e32 v[10:11], v[14:15]
	v_ldexp_f64 v[10:11], v[10:11], 2
	s_delay_alu instid0(VALU_DEP_1) | instskip(NEXT) | instid1(VALU_DEP_1)
	v_dual_add_f64 v[8:9], v[20:21], -v[8:9] :: v_dual_cndmask_b32 v11, 0, v11, vcc_lo
	v_dual_add_f64 v[8:9], v[12:13], -v[8:9] :: v_dual_cndmask_b32 v10, 0, v10, vcc_lo
	v_add_f64_e32 v[12:13], v[18:19], v[4:5]
	s_delay_alu instid0(VALU_DEP_1) | instskip(SKIP_1) | instid1(VALU_DEP_2)
	v_add_f64_e32 v[14:15], v[8:9], v[12:13]
	v_add_f64_e64 v[24:25], v[12:13], -v[18:19]
	v_add_f64_e32 v[20:21], v[14:15], v[10:11]
	s_delay_alu instid0(VALU_DEP_2) | instskip(SKIP_2) | instid1(VALU_DEP_4)
	v_add_f64_e64 v[30:31], v[12:13], -v[24:25]
	v_add_f64_e64 v[4:5], v[4:5], -v[24:25]
	;; [unrolled: 1-line block ×3, first 2 shown]
	v_cmp_gt_f64_e32 vcc_lo, 0, v[20:21]
	v_add_f64_e64 v[20:21], v[18:19], -v[22:23]
	s_delay_alu instid0(VALU_DEP_3) | instskip(SKIP_2) | instid1(VALU_DEP_2)
	v_add_f64_e64 v[8:9], v[12:13], -v[8:9]
	s_and_b32 s25, vcc_lo, exec_lo
	s_cselect_b32 s27, 0x40100000, 0
	v_add_f64_e64 v[28:29], v[18:19], -v[20:21]
	v_add_f64_e32 v[10:11], s[26:27], v[10:11]
	v_add_f64_e64 v[6:7], v[6:7], -v[20:21]
	v_add_f64_e64 v[18:19], v[18:19], -v[30:31]
	s_delay_alu instid0(VALU_DEP_4) | instskip(NEXT) | instid1(VALU_DEP_4)
	v_add_f64_e64 v[20:21], v[22:23], -v[28:29]
	v_add_f64_e32 v[26:27], v[14:15], v[10:11]
	s_delay_alu instid0(VALU_DEP_3) | instskip(NEXT) | instid1(VALU_DEP_3)
	v_add_f64_e32 v[4:5], v[4:5], v[18:19]
	v_add_f64_e32 v[6:7], v[6:7], v[20:21]
	s_delay_alu instid0(VALU_DEP_3) | instskip(NEXT) | instid1(VALU_DEP_2)
	v_cvt_i32_f64_e32 v1, v[26:27]
	v_add_f64_e32 v[4:5], v[6:7], v[4:5]
	s_delay_alu instid0(VALU_DEP_2) | instskip(SKIP_1) | instid1(VALU_DEP_3)
	v_cvt_f64_i32_e32 v[24:25], v1
	v_readfirstlane_b32 s25, v1
	v_add_f64_e32 v[2:3], v[2:3], v[4:5]
	s_delay_alu instid0(VALU_DEP_3) | instskip(NEXT) | instid1(VALU_DEP_2)
	v_add_f64_e64 v[10:11], v[10:11], -v[24:25]
	v_add_f64_e32 v[2:3], v[8:9], v[2:3]
	s_delay_alu instid0(VALU_DEP_2) | instskip(NEXT) | instid1(VALU_DEP_1)
	v_add_f64_e32 v[6:7], v[14:15], v[10:11]
	v_add_f64_e64 v[4:5], v[6:7], -v[10:11]
	v_cmp_le_f64_e32 vcc_lo, 0.5, v[6:7]
	s_delay_alu instid0(VALU_DEP_2) | instskip(SKIP_4) | instid1(VALU_DEP_1)
	v_add_f64_e64 v[4:5], v[14:15], -v[4:5]
	s_cmp_lg_u32 vcc_lo, 0
	s_add_co_ci_u32 s25, s25, 0
	s_and_b32 s27, vcc_lo, exec_lo
	s_cselect_b32 s27, 0x3ff00000, 0
	v_add_f64_e32 v[2:3], v[2:3], v[4:5]
	v_add_f64_e64 v[4:5], v[6:7], -s[26:27]
	s_mov_b64 s[26:27], 0x3ff921fb54442d18
	s_delay_alu instid0(VALU_DEP_1) | instskip(NEXT) | instid1(VALU_DEP_1)
	v_add_f64_e32 v[6:7], v[4:5], v[2:3]
	v_mul_f64_e32 v[8:9], 0x3ff921fb54442d18, v[6:7]
	v_add_f64_e64 v[4:5], v[6:7], -v[4:5]
	s_delay_alu instid0(VALU_DEP_2) | instskip(NEXT) | instid1(VALU_DEP_2)
	v_fma_f64 v[10:11], v[6:7], s[26:27], -v[8:9]
	v_add_f64_e64 v[2:3], v[2:3], -v[4:5]
	s_mov_b32 s26, s7
	s_delay_alu instid0(VALU_DEP_2) | instskip(NEXT) | instid1(VALU_DEP_1)
	v_fmamk_f64 v[4:5], v[6:7], 0x3c91a62633145c07, v[10:11]
	v_fmac_f64_e32 v[4:5], 0x3ff921fb54442d18, v[2:3]
	s_delay_alu instid0(VALU_DEP_1) | instskip(NEXT) | instid1(VALU_DEP_1)
	v_add_f64_e32 v[2:3], v[8:9], v[4:5]
	v_add_f64_e64 v[6:7], v[2:3], -v[8:9]
	s_delay_alu instid0(VALU_DEP_1)
	v_add_f64_e64 v[4:5], v[4:5], -v[6:7]
	s_load_b64 s[30:31], s[38:39], s6 offset:0x0 scale_offset
	s_and_not1_b32 vcc_lo, exec_lo, s26
	s_cbranch_vccz .LBB0_3
	s_branch .LBB0_4
.LBB0_2:
                                        ; implicit-def: $sgpr25
                                        ; implicit-def: $vgpr2_vgpr3
                                        ; implicit-def: $vgpr4_vgpr5
	s_load_b64 s[30:31], s[38:39], s6 offset:0x0 scale_offset
.LBB0_3:
	s_mov_b64 s[26:27], 0x3fe45f306dc9c883
	s_delay_alu instid0(SALU_CYCLE_1) | instskip(SKIP_1) | instid1(VALU_DEP_1)
	v_mul_f64_e64 v[2:3], |s[2:3]|, s[26:27]
	s_mov_b64 s[26:27], 0xbff921fb54442d18
	v_rndne_f64_e32 v[4:5], v[2:3]
	s_delay_alu instid0(VALU_DEP_1) | instskip(SKIP_2) | instid1(VALU_DEP_3)
	v_fma_f64 v[2:3], v[4:5], s[26:27], |s[2:3]|
	v_mul_f64_e32 v[6:7], 0xbc91a62633145c00, v[4:5]
	v_cvt_i32_f64_e32 v1, v[4:5]
	v_fmamk_f64 v[12:13], v[4:5], 0xbc91a62633145c00, v[2:3]
	s_delay_alu instid0(VALU_DEP_3) | instskip(NEXT) | instid1(VALU_DEP_3)
	v_add_f64_e32 v[8:9], v[2:3], v[6:7]
	v_readfirstlane_b32 s25, v1
	s_delay_alu instid0(VALU_DEP_2) | instskip(NEXT) | instid1(VALU_DEP_4)
	v_add_f64_e64 v[10:11], v[2:3], -v[8:9]
	v_add_f64_e64 v[8:9], v[8:9], -v[12:13]
	s_delay_alu instid0(VALU_DEP_2) | instskip(SKIP_1) | instid1(VALU_DEP_2)
	v_add_f64_e32 v[2:3], v[10:11], v[6:7]
	v_fmamk_f64 v[6:7], v[4:5], 0x3c91a62633145c00, v[6:7]
	v_add_f64_e32 v[2:3], v[8:9], v[2:3]
	s_delay_alu instid0(VALU_DEP_1) | instskip(NEXT) | instid1(VALU_DEP_1)
	v_add_f64_e64 v[2:3], v[2:3], -v[6:7]
	v_fmamk_f64 v[6:7], v[4:5], 0xb97b839a252049c0, v[2:3]
	s_delay_alu instid0(VALU_DEP_1) | instskip(NEXT) | instid1(VALU_DEP_1)
	v_add_f64_e32 v[2:3], v[12:13], v[6:7]
	v_add_f64_e64 v[8:9], v[2:3], -v[12:13]
	s_delay_alu instid0(VALU_DEP_1)
	v_add_f64_e64 v[4:5], v[6:7], -v[8:9]
.LBB0_4:
	s_wait_kmcnt 0x0
	v_cmp_lt_i64_e64 s26, s[30:31], 1
	s_and_b32 vcc_lo, exec_lo, s26
	s_cbranch_vccnz .LBB0_14
; %bb.5:
	v_cmp_class_f64_e64 s2, s[2:3], 0x1f8
	v_mul_f64_e32 v[6:7], v[2:3], v[2:3]
	s_bitcmp0_b32 s25, 0
	s_mov_b64 s[26:27], 0x3de5e0b2f9a43bb8
	s_cselect_b32 vcc_lo, -1, 0
	v_mul_f64_e32 v[14:15], 0.5, v[4:5]
	s_lshl_b32 s25, s25, 30
	s_mov_b32 s39, 0
	s_xor_b32 s3, s25, s3
	s_bfe_u32 s25, ttmp6, 0x4000c
	s_and_b32 s3, s3, 0x80000000
	s_add_co_i32 s25, s25, 1
	s_mov_b64 s[34:35], 0
	s_mul_i32 s25, ttmp9, s25
	s_delay_alu instid0(VALU_DEP_2) | instskip(SKIP_3) | instid1(VALU_DEP_3)
	v_dual_mul_f64 v[8:9], 0.5, v[6:7] :: v_dual_mov_b32 v149, 0
	v_mul_f64_e64 v[16:17], v[2:3], -v[6:7]
	v_fmaak_f64 v[18:19], s[26:27], v[6:7], 0xbe5ae600b42fdfa7
	s_mov_b64 s[26:27], 0xbda907db46cc5e42
	v_add_f64_e64 v[10:11], -v[8:9], 1.0
	s_delay_alu instid0(VALU_DEP_1) | instskip(NEXT) | instid1(VALU_DEP_1)
	v_add_f64_e64 v[12:13], -v[10:11], 1.0
	v_add_f64_e64 v[8:9], v[12:13], -v[8:9]
	s_delay_alu instid0(VALU_DEP_4) | instskip(SKIP_1) | instid1(VALU_DEP_2)
	v_fmaak_f64 v[12:13], v[6:7], v[18:19], 0x3ec71de3796cde01
	v_mul_f64_e32 v[18:19], v[6:7], v[6:7]
	v_fmaak_f64 v[12:13], v[6:7], v[12:13], 0xbf2a01a019e83e5c
	s_delay_alu instid0(VALU_DEP_1) | instskip(NEXT) | instid1(VALU_DEP_1)
	v_fmaak_f64 v[12:13], v[6:7], v[12:13], 0x3f81111111110bb3
	v_fmac_f64_e32 v[14:15], v[16:17], v[12:13]
	v_fmaak_f64 v[12:13], s[26:27], v[6:7], 0x3e21eeb69037ab78
	s_and_b32 s26, ttmp6, 15
	s_delay_alu instid0(SALU_CYCLE_1) | instskip(SKIP_3) | instid1(VALU_DEP_1)
	s_add_co_i32 s33, s26, s25
	s_cmp_eq_u32 s24, 0
	s_load_b128 s[24:27], s[0:1], 0x80
	s_cselect_b32 s38, ttmp9, s33
	v_fmaak_f64 v[12:13], v[6:7], v[12:13], 0xbe927e4fa17f65f6
	s_mul_u64 s[38:39], s[20:21], s[38:39]
	v_fma_f64 v[8:9], v[2:3], -v[4:5], v[8:9]
	s_wait_xcnt 0x0
	s_mul_u64 s[0:1], s[4:5], s[22:23]
	s_delay_alu instid0(SALU_CYCLE_1) | instskip(NEXT) | instid1(VALU_DEP_2)
	s_lshl_b64 s[0:1], s[0:1], 6
	v_fmaak_f64 v[12:13], v[6:7], v[12:13], 0x3efa01a019f4ec90
	s_delay_alu instid0(VALU_DEP_1) | instskip(SKIP_1) | instid1(VALU_DEP_2)
	v_fmaak_f64 v[12:13], v[6:7], v[12:13], 0xbf56c16c16c16967
	v_fma_f64 v[4:5], v[6:7], v[14:15], -v[4:5]
	v_fmaak_f64 v[6:7], v[6:7], v[12:13], 0x3fa5555555555555
	s_delay_alu instid0(VALU_DEP_1) | instskip(NEXT) | instid1(VALU_DEP_3)
	v_fmac_f64_e32 v[8:9], v[18:19], v[6:7]
	v_fmamk_f64 v[4:5], v[16:17], 0xbfc5555555555555, v[4:5]
	s_delay_alu instid0(VALU_DEP_1) | instskip(NEXT) | instid1(VALU_DEP_3)
	v_add_f64_e64 v[2:3], v[2:3], -v[4:5]
	v_add_f64_e32 v[4:5], v[10:11], v[8:9]
	s_delay_alu instid0(VALU_DEP_1) | instskip(NEXT) | instid1(VALU_DEP_1)
	v_dual_cndmask_b32 v1, v4, v2 :: v_dual_cndmask_b32 v2, v5, v3
	v_dual_cndmask_b32 v2, 0, v1, s2 :: v_dual_bitop2_b32 v3, s3, v2 bitop3:0x14
	v_mov_b32_e32 v1, v149
	s_delay_alu instid0(VALU_DEP_2)
	v_cndmask_b32_e64 v3, 0x7ff80000, v3, s2
	s_load_b64 s[2:3], s[40:41], s6 offset:0x0 scale_offset
	s_wait_xcnt 0x0
	s_mul_u64 s[40:41], s[22:23], s[6:7]
	s_mul_u64 s[6:7], s[36:37], s[6:7]
	s_lshl_b64 s[36:37], s[4:5], 6
	v_add_f64_e32 v[2:3], -2.0, v[2:3]
	s_add_nc_u64 s[36:37], s[8:9], s[36:37]
	s_lshl_b64 s[8:9], s[38:39], 6
	s_wait_kmcnt 0x0
	s_lshl_b64 s[2:3], s[2:3], 3
	s_delay_alu instid0(SALU_CYCLE_1)
	s_add_nc_u64 s[22:23], s[42:43], s[2:3]
	s_mul_u64 s[2:3], s[40:41], s[20:21]
	s_lshl_b64 s[20:21], s[6:7], 8
	s_lshl_b64 s[6:7], s[4:5], 9
	;; [unrolled: 1-line block ×3, first 2 shown]
	s_add_nc_u64 s[10:11], s[10:11], s[6:7]
	s_add_nc_u64 s[6:7], s[14:15], s[8:9]
	s_mul_u64 s[4:5], s[4:5], 48
	s_add_nc_u64 s[14:15], s[6:7], s[2:3]
	s_lshl_b64 s[2:3], s[38:39], 3
	s_add_nc_u64 s[38:39], s[6:7], s[0:1]
	s_add_nc_u64 s[16:17], s[16:17], s[2:3]
	;; [unrolled: 1-line block ×3, first 2 shown]
	s_mov_b64 s[42:43], 0
	s_delay_alu instid0(VALU_DEP_1)
	v_max_num_f64_e32 v[146:147], 0, v[2:3]
	s_branch .LBB0_7
.LBB0_6:                                ;   in Loop: Header=BB0_7 Depth=1
	s_or_b32 exec_lo, exec_lo, s33
	s_add_nc_u64 s[42:43], s[42:43], 1
	s_add_nc_u64 s[34:35], s[44:45], s[34:35]
	s_cmp_eq_u64 s[42:43], s[30:31]
	s_wait_storecnt 0x0
	s_barrier_signal -1
	s_barrier_wait -1
	s_cbranch_scc1 .LBB0_14
.LBB0_7:                                ; =>This Loop Header: Depth=1
                                        ;     Child Loop BB0_10 Depth 2
                                        ;       Child Loop BB0_12 Depth 3
	s_lshl_b64 s[0:1], s[42:43], 3
	s_mov_b32 s33, exec_lo
	s_add_nc_u64 s[0:1], s[22:23], s[0:1]
	s_load_b64 s[44:45], s[0:1], 0x0
	s_wait_kmcnt 0x0
	v_cmpx_gt_i64_e64 s[44:45], v[0:1]
	s_cbranch_execz .LBB0_6
; %bb.8:                                ;   in Loop: Header=BB0_7 Depth=1
	v_mov_b64_e32 v[150:151], v[0:1]
	s_lshl_b64 s[0:1], s[34:35], 3
	s_mov_b32 s54, 0
	s_add_nc_u64 s[46:47], s[28:29], s[0:1]
	s_branch .LBB0_10
.LBB0_9:                                ;   in Loop: Header=BB0_10 Depth=2
	v_add_nc_u64_e32 v[156:157], s[18:19], v[156:157]
	v_lshl_add_u64 v[174:175], v[154:155], 3, s[16:17]
	v_add_nc_u64_e32 v[150:151], 64, v[150:151]
	global_load_b64 v[154:155], v[174:175], off
	s_clause 0x3
	global_load_b128 v[158:161], v[156:157], off
	global_load_b128 v[162:165], v[156:157], off offset:16
	global_load_b128 v[166:169], v[156:157], off offset:32
	;; [unrolled: 1-line block ×3, first 2 shown]
	s_wait_loadcnt 0x3
	v_fmac_f64_e32 v[42:43], v[154:155], v[158:159]
	v_fmac_f64_e32 v[44:45], v[154:155], v[160:161]
	s_wait_loadcnt 0x2
	v_fmac_f64_e32 v[142:143], v[154:155], v[162:163]
	v_fmac_f64_e32 v[144:145], v[154:155], v[164:165]
	s_wait_loadcnt 0x1
	v_fmac_f64_e32 v[138:139], v[154:155], v[166:167]
	s_clause 0x1
	global_load_b128 v[158:161], v[156:157], off offset:64
	global_load_b128 v[162:165], v[156:157], off offset:80
	v_fmac_f64_e32 v[140:141], v[154:155], v[168:169]
	s_wait_loadcnt 0x2
	v_fmac_f64_e32 v[134:135], v[154:155], v[170:171]
	v_fmac_f64_e32 v[136:137], v[154:155], v[172:173]
	s_clause 0x1
	global_load_b128 v[166:169], v[156:157], off offset:96
	global_load_b128 v[170:173], v[156:157], off offset:112
	s_wait_xcnt 0x8
	v_div_scale_f64 v[174:175], null, v[42:43], v[42:43], v[44:45]
	v_div_scale_f64 v[176:177], null, v[42:43], v[42:43], v[142:143]
	;; [unrolled: 1-line block ×7, first 2 shown]
	v_div_scale_f64 v[216:217], vcc_lo, v[44:45], v[42:43], v[44:45]
	v_rcp_f64_e32 v[188:189], v[174:175]
	v_rcp_f64_e32 v[190:191], v[176:177]
	;; [unrolled: 1-line block ×4, first 2 shown]
	s_delay_alu instid0(VALU_DEP_4) | instskip(NEXT) | instid1(VALU_DEP_3)
	v_rcp_f64_e32 v[196:197], v[182:183]
	v_rcp_f64_e32 v[198:199], v[184:185]
	s_delay_alu instid0(VALU_DEP_2) | instskip(SKIP_4) | instid1(TRANS32_DEP_3)
	v_rcp_f64_e32 v[200:201], v[186:187]
	v_fma_f64 v[202:203], -v[174:175], v[188:189], 1.0
	v_fma_f64 v[204:205], -v[176:177], v[190:191], 1.0
	v_fma_f64 v[206:207], -v[178:179], v[192:193], 1.0
	v_fma_f64 v[208:209], -v[180:181], v[194:195], 1.0
	v_fma_f64 v[210:211], -v[182:183], v[196:197], 1.0
	s_delay_alu instid0(TRANS32_DEP_2) | instskip(NEXT) | instid1(TRANS32_DEP_1)
	v_fma_f64 v[212:213], -v[184:185], v[198:199], 1.0
	v_fma_f64 v[214:215], -v[186:187], v[200:201], 1.0
	v_fmac_f64_e32 v[188:189], v[188:189], v[202:203]
	v_fmac_f64_e32 v[190:191], v[190:191], v[204:205]
	;; [unrolled: 1-line block ×7, first 2 shown]
	v_fma_f64 v[202:203], -v[174:175], v[188:189], 1.0
	v_fma_f64 v[204:205], -v[176:177], v[190:191], 1.0
	;; [unrolled: 1-line block ×7, first 2 shown]
	v_fmac_f64_e32 v[188:189], v[188:189], v[202:203]
	v_div_scale_f64 v[202:203], s0, v[142:143], v[42:43], v[142:143]
	v_fmac_f64_e32 v[190:191], v[190:191], v[204:205]
	v_div_scale_f64 v[204:205], s1, v[144:145], v[42:43], v[144:145]
	;; [unrolled: 2-line block ×6, first 2 shown]
	v_fmac_f64_e32 v[200:201], v[200:201], v[214:215]
	v_mul_f64_e32 v[214:215], v[216:217], v[188:189]
	v_mul_f64_e32 v[218:219], v[202:203], v[190:191]
	v_mul_f64_e32 v[220:221], v[204:205], v[192:193]
	v_mul_f64_e32 v[222:223], v[206:207], v[194:195]
	v_mul_f64_e32 v[224:225], v[208:209], v[196:197]
	v_mul_f64_e32 v[226:227], v[210:211], v[198:199]
	v_mul_f64_e32 v[228:229], v[212:213], v[200:201]
	v_fma_f64 v[174:175], -v[174:175], v[214:215], v[216:217]
	v_fma_f64 v[176:177], -v[176:177], v[218:219], v[202:203]
	;; [unrolled: 1-line block ×7, first 2 shown]
	v_div_fmas_f64 v[174:175], v[174:175], v[188:189], v[214:215]
	s_mov_b32 vcc_lo, s0
	v_div_fmas_f64 v[176:177], v[176:177], v[190:191], v[218:219]
	s_mov_b32 vcc_lo, s1
	;; [unrolled: 2-line block ×6, first 2 shown]
	v_div_fmas_f64 v[186:187], v[186:187], v[200:201], v[228:229]
	s_wait_loadcnt 0x3
	v_fmac_f64_e32 v[46:47], v[154:155], v[158:159]
	v_fmac_f64_e32 v[48:49], v[154:155], v[160:161]
	v_div_fixup_f64 v[158:159], v[174:175], v[42:43], v[44:45]
	s_wait_loadcnt 0x2
	v_fmac_f64_e32 v[130:131], v[154:155], v[162:163]
	v_fmac_f64_e32 v[132:133], v[154:155], v[164:165]
	v_div_fixup_f64 v[142:143], v[176:177], v[42:43], v[142:143]
	global_load_b128 v[174:177], v[156:157], off offset:128
	s_wait_loadcnt 0x2
	v_fmac_f64_e32 v[126:127], v[154:155], v[166:167]
	v_div_fixup_f64 v[144:145], v[178:179], v[42:43], v[144:145]
	v_fmac_f64_e32 v[128:129], v[154:155], v[168:169]
	s_wait_loadcnt 0x1
	v_fmac_f64_e32 v[122:123], v[154:155], v[170:171]
	v_div_fixup_f64 v[138:139], v[180:181], v[42:43], v[138:139]
	v_fmac_f64_e32 v[124:125], v[154:155], v[172:173]
	v_div_fixup_f64 v[44:45], v[182:183], v[42:43], v[140:141]
	v_div_fixup_f64 v[140:141], v[184:185], v[42:43], v[134:135]
	;; [unrolled: 1-line block ×3, first 2 shown]
	v_fma_f64 v[136:137], v[158:159], v[46:47], 0
	v_fma_f64 v[160:161], v[142:143], v[46:47], 0
	;; [unrolled: 1-line block ×7, first 2 shown]
	v_add_f64_e64 v[136:137], v[48:49], -v[136:137]
	v_add_f64_e64 v[48:49], v[130:131], -v[160:161]
	;; [unrolled: 1-line block ×3, first 2 shown]
	s_clause 0x1
	global_load_b128 v[130:133], v[156:157], off offset:144
	global_load_b128 v[160:163], v[156:157], off offset:160
	v_add_f64_e64 v[126:127], v[126:127], -v[164:165]
	v_add_f64_e64 v[128:129], v[128:129], -v[166:167]
	global_load_b128 v[164:167], v[156:157], off offset:176
	v_add_f64_e64 v[178:179], v[122:123], -v[168:169]
	v_add_f64_e64 v[180:181], v[124:125], -v[170:171]
	v_div_scale_f64 v[122:123], null, v[136:137], v[136:137], v[48:49]
	v_div_scale_f64 v[210:211], vcc_lo, v[48:49], v[136:137], v[48:49]
	v_div_scale_f64 v[124:125], null, v[136:137], v[136:137], v[172:173]
	v_div_scale_f64 v[182:183], null, v[136:137], v[136:137], v[126:127]
	v_div_scale_f64 v[212:213], s1, v[126:127], v[136:137], v[126:127]
	v_div_scale_f64 v[184:185], null, v[136:137], v[136:137], v[128:129]
	v_div_scale_f64 v[186:187], null, v[136:137], v[136:137], v[178:179]
	;; [unrolled: 1-line block ×3, first 2 shown]
	v_rcp_f64_e32 v[190:191], v[122:123]
	v_rcp_f64_e32 v[192:193], v[124:125]
	;; [unrolled: 1-line block ×3, first 2 shown]
	s_delay_alu instid0(VALU_DEP_3) | instskip(NEXT) | instid1(VALU_DEP_2)
	v_rcp_f64_e32 v[196:197], v[184:185]
	v_rcp_f64_e32 v[198:199], v[186:187]
	s_delay_alu instid0(VALU_DEP_1) | instskip(SKIP_3) | instid1(TRANS32_DEP_3)
	v_rcp_f64_e32 v[200:201], v[188:189]
	v_fma_f64 v[168:169], -v[122:123], v[190:191], 1.0
	v_fma_f64 v[170:171], -v[124:125], v[192:193], 1.0
	;; [unrolled: 1-line block ×4, first 2 shown]
	s_delay_alu instid0(TRANS32_DEP_2) | instskip(NEXT) | instid1(TRANS32_DEP_1)
	v_fma_f64 v[206:207], -v[186:187], v[198:199], 1.0
	v_fma_f64 v[208:209], -v[188:189], v[200:201], 1.0
	v_fmac_f64_e32 v[190:191], v[190:191], v[168:169]
	v_fmac_f64_e32 v[192:193], v[192:193], v[170:171]
	;; [unrolled: 1-line block ×6, first 2 shown]
	v_fma_f64 v[168:169], -v[122:123], v[190:191], 1.0
	v_fma_f64 v[170:171], -v[124:125], v[192:193], 1.0
	;; [unrolled: 1-line block ×6, first 2 shown]
	v_fmac_f64_e32 v[190:191], v[190:191], v[168:169]
	v_div_scale_f64 v[168:169], s0, v[172:173], v[136:137], v[172:173]
	v_fmac_f64_e32 v[192:193], v[192:193], v[170:171]
	v_fmac_f64_e32 v[194:195], v[194:195], v[202:203]
	v_div_scale_f64 v[202:203], s2, v[128:129], v[136:137], v[128:129]
	v_fmac_f64_e32 v[196:197], v[196:197], v[204:205]
	v_div_scale_f64 v[204:205], s3, v[178:179], v[136:137], v[178:179]
	;; [unrolled: 2-line block ×3, first 2 shown]
	v_fmac_f64_e32 v[200:201], v[200:201], v[208:209]
	v_mul_f64_e32 v[208:209], v[210:211], v[190:191]
	v_mul_f64_e32 v[214:215], v[168:169], v[192:193]
	;; [unrolled: 1-line block ×6, first 2 shown]
	s_wait_loadcnt 0x3
	v_fmac_f64_e32 v[38:39], v[154:155], v[174:175]
	v_fmac_f64_e32 v[40:41], v[154:155], v[176:177]
	v_fma_f64 v[122:123], -v[122:123], v[208:209], v[210:211]
	v_fma_f64 v[124:125], -v[124:125], v[214:215], v[168:169]
	global_load_b128 v[168:171], v[156:157], off offset:192
	v_fma_f64 v[174:175], -v[182:183], v[216:217], v[212:213]
	v_fma_f64 v[182:183], -v[184:185], v[218:219], v[202:203]
	;; [unrolled: 1-line block ×4, first 2 shown]
	v_fma_f64 v[176:177], v[158:159], v[38:39], 0
	v_div_fmas_f64 v[122:123], v[122:123], v[190:191], v[208:209]
	s_mov_b32 vcc_lo, s0
	v_fma_f64 v[190:191], v[142:143], v[38:39], 0
	v_div_fmas_f64 v[188:189], v[124:125], v[192:193], v[214:215]
	s_mov_b32 vcc_lo, s1
	;; [unrolled: 3-line block ×4, first 2 shown]
	v_div_fmas_f64 v[184:185], v[184:185], v[198:199], v[220:221]
	s_mov_b32 vcc_lo, s4
	v_div_fmas_f64 v[186:187], v[186:187], v[200:201], v[222:223]
	v_add_f64_e64 v[176:177], v[40:41], -v[176:177]
	s_wait_loadcnt 0x3
	v_fmac_f64_e32 v[118:119], v[154:155], v[130:131]
	v_fmac_f64_e32 v[120:121], v[154:155], v[132:133]
	v_div_fixup_f64 v[124:125], v[122:123], v[136:137], v[48:49]
	s_wait_loadcnt 0x2
	v_fmac_f64_e32 v[114:115], v[154:155], v[160:161]
	v_fmac_f64_e32 v[116:117], v[154:155], v[162:163]
	v_div_fixup_f64 v[40:41], v[188:189], v[136:137], v[172:173]
	v_fma_f64 v[188:189], v[138:139], v[38:39], 0
	s_wait_loadcnt 0x1
	v_fmac_f64_e32 v[110:111], v[154:155], v[164:165]
	v_div_fixup_f64 v[48:49], v[174:175], v[136:137], v[126:127]
	global_load_b128 v[172:175], v[156:157], off offset:208
	v_fmac_f64_e32 v[112:113], v[154:155], v[166:167]
	v_div_fixup_f64 v[122:123], v[182:183], v[136:137], v[128:129]
	v_fma_f64 v[182:183], v[140:141], v[38:39], 0
	v_div_fixup_f64 v[126:127], v[184:185], v[136:137], v[178:179]
	v_fma_f64 v[178:179], v[134:135], v[38:39], 0
	v_div_fixup_f64 v[128:129], v[186:187], v[136:137], v[180:181]
	v_fmac_f64_e32 v[190:191], v[124:125], v[176:177]
	v_fmac_f64_e32 v[192:193], v[40:41], v[176:177]
	;; [unrolled: 1-line block ×6, first 2 shown]
	v_add_f64_e64 v[160:161], v[118:119], -v[190:191]
	v_add_f64_e64 v[162:163], v[120:121], -v[192:193]
	;; [unrolled: 1-line block ×4, first 2 shown]
	global_load_b128 v[114:117], v[156:157], off offset:240
	v_add_f64_e64 v[180:181], v[110:111], -v[182:183]
	v_add_f64_e64 v[178:179], v[112:113], -v[178:179]
	global_load_b128 v[110:113], v[156:157], off offset:224
	v_div_scale_f64 v[130:131], null, v[160:161], v[160:161], v[162:163]
	v_div_scale_f64 v[132:133], null, v[160:161], v[160:161], v[164:165]
	;; [unrolled: 1-line block ×5, first 2 shown]
	v_rcp_f64_e32 v[188:189], v[130:131]
	s_delay_alu instid0(VALU_DEP_4) | instskip(NEXT) | instid1(VALU_DEP_3)
	v_rcp_f64_e32 v[190:191], v[132:133]
	v_rcp_f64_e32 v[192:193], v[182:183]
	s_delay_alu instid0(VALU_DEP_2) | instskip(NEXT) | instid1(VALU_DEP_1)
	v_rcp_f64_e32 v[194:195], v[184:185]
	v_rcp_f64_e32 v[196:197], v[186:187]
	v_fma_f64 v[118:119], -v[130:131], v[188:189], 1.0
	v_fma_f64 v[120:121], -v[132:133], v[190:191], 1.0
	s_delay_alu instid0(TRANS32_DEP_3) | instskip(NEXT) | instid1(TRANS32_DEP_2)
	v_fma_f64 v[198:199], -v[182:183], v[192:193], 1.0
	v_fma_f64 v[200:201], -v[184:185], v[194:195], 1.0
	s_delay_alu instid0(TRANS32_DEP_1)
	v_fma_f64 v[202:203], -v[186:187], v[196:197], 1.0
	v_fmac_f64_e32 v[188:189], v[188:189], v[118:119]
	v_fmac_f64_e32 v[190:191], v[190:191], v[120:121]
	global_load_b128 v[118:121], v[156:157], off offset:256
	v_fmac_f64_e32 v[192:193], v[192:193], v[198:199]
	v_fmac_f64_e32 v[194:195], v[194:195], v[200:201]
	;; [unrolled: 1-line block ×3, first 2 shown]
	v_fma_f64 v[198:199], -v[130:131], v[188:189], 1.0
	v_fma_f64 v[200:201], -v[132:133], v[190:191], 1.0
	;; [unrolled: 1-line block ×5, first 2 shown]
	s_wait_loadcnt 0x4
	v_fmac_f64_e32 v[34:35], v[154:155], v[168:169]
	v_div_scale_f64 v[168:169], vcc_lo, v[162:163], v[160:161], v[162:163]
	v_fmac_f64_e32 v[36:37], v[154:155], v[170:171]
	v_fmac_f64_e32 v[188:189], v[188:189], v[198:199]
	v_div_scale_f64 v[198:199], s0, v[164:165], v[160:161], v[164:165]
	v_fmac_f64_e32 v[190:191], v[190:191], v[200:201]
	v_div_scale_f64 v[200:201], s1, v[166:167], v[160:161], v[166:167]
	;; [unrolled: 2-line block ×4, first 2 shown]
	v_fmac_f64_e32 v[196:197], v[196:197], v[206:207]
	v_fma_f64 v[170:171], v[158:159], v[34:35], 0
	v_fma_f64 v[216:217], v[142:143], v[34:35], 0
	v_mul_f64_e32 v[206:207], v[168:169], v[188:189]
	v_mul_f64_e32 v[208:209], v[198:199], v[190:191]
	;; [unrolled: 1-line block ×5, first 2 shown]
	v_add_f64_e64 v[36:37], v[36:37], -v[170:171]
	s_wait_loadcnt 0x3
	v_fmac_f64_e32 v[106:107], v[154:155], v[172:173]
	v_fma_f64 v[172:173], v[144:145], v[34:35], 0
	v_fma_f64 v[168:169], -v[130:131], v[206:207], v[168:169]
	v_fmac_f64_e32 v[108:109], v[154:155], v[174:175]
	v_fma_f64 v[170:171], -v[132:133], v[208:209], v[198:199]
	v_fma_f64 v[198:199], v[138:139], v[34:35], 0
	global_load_b128 v[130:133], v[156:157], off offset:272
	v_fma_f64 v[182:183], -v[182:183], v[210:211], v[200:201]
	v_fma_f64 v[200:201], v[44:45], v[34:35], 0
	v_fma_f64 v[184:185], -v[184:185], v[212:213], v[202:203]
	v_fma_f64 v[202:203], v[140:141], v[34:35], 0
	;; [unrolled: 2-line block ×3, first 2 shown]
	v_fmac_f64_e32 v[216:217], v[124:125], v[36:37]
	v_fmac_f64_e32 v[172:173], v[40:41], v[36:37]
	v_div_fmas_f64 v[168:169], v[168:169], v[188:189], v[206:207]
	s_mov_b32 vcc_lo, s0
	v_div_fmas_f64 v[170:171], v[170:171], v[190:191], v[208:209]
	s_mov_b32 vcc_lo, s1
	v_fmac_f64_e32 v[198:199], v[48:49], v[36:37]
	v_div_fmas_f64 v[182:183], v[182:183], v[192:193], v[210:211]
	s_mov_b32 vcc_lo, s2
	v_fmac_f64_e32 v[200:201], v[122:123], v[36:37]
	;; [unrolled: 3-line block ×3, first 2 shown]
	v_div_fmas_f64 v[186:187], v[186:187], v[196:197], v[214:215]
	v_fmac_f64_e32 v[204:205], v[128:129], v[36:37]
	v_add_f64_e64 v[188:189], v[106:107], -v[216:217]
	v_div_fixup_f64 v[162:163], v[168:169], v[160:161], v[162:163]
	s_wait_loadcnt 0x3
	v_fmac_f64_e32 v[98:99], v[154:155], v[114:115]
	v_fmac_f64_e32 v[100:101], v[154:155], v[116:117]
	v_div_fixup_f64 v[164:165], v[170:171], v[160:161], v[164:165]
	v_div_fixup_f64 v[166:167], v[182:183], v[160:161], v[166:167]
	s_wait_loadcnt 0x2
	v_fmac_f64_e32 v[102:103], v[154:155], v[110:111]
	v_fmac_f64_e32 v[104:105], v[154:155], v[112:113]
	v_div_fixup_f64 v[168:169], v[184:185], v[160:161], v[180:181]
	v_div_fixup_f64 v[170:171], v[186:187], v[160:161], v[178:179]
	v_fmac_f64_e32 v[172:173], v[162:163], v[188:189]
	v_fmac_f64_e32 v[198:199], v[164:165], v[188:189]
	;; [unrolled: 1-line block ×5, first 2 shown]
	v_add_f64_e64 v[114:115], v[108:109], -v[172:173]
	v_add_f64_e64 v[116:117], v[102:103], -v[198:199]
	v_add_f64_e64 v[172:173], v[104:105], -v[200:201]
	global_load_b128 v[102:105], v[156:157], off offset:304
	v_add_f64_e64 v[174:175], v[98:99], -v[202:203]
	v_add_f64_e64 v[178:179], v[100:101], -v[204:205]
	global_load_b128 v[98:101], v[156:157], off offset:288
	v_div_scale_f64 v[180:181], null, v[114:115], v[114:115], v[116:117]
	v_div_scale_f64 v[202:203], vcc_lo, v[116:117], v[114:115], v[116:117]
	v_div_scale_f64 v[182:183], null, v[114:115], v[114:115], v[172:173]
	v_div_scale_f64 v[184:185], null, v[114:115], v[114:115], v[174:175]
	v_div_scale_f64 v[204:205], s0, v[172:173], v[114:115], v[172:173]
	v_div_scale_f64 v[186:187], null, v[114:115], v[114:115], v[178:179]
	v_rcp_f64_e32 v[190:191], v[180:181]
	s_wait_loadcnt 0x3
	v_fmac_f64_e32 v[26:27], v[154:155], v[118:119]
	v_fmac_f64_e32 v[28:29], v[154:155], v[120:121]
	v_rcp_f64_e32 v[192:193], v[182:183]
	v_rcp_f64_e32 v[194:195], v[184:185]
	s_delay_alu instid0(VALU_DEP_3) | instskip(NEXT) | instid1(VALU_DEP_2)
	v_rcp_f64_e32 v[196:197], v[186:187]
	v_fma_f64 v[200:201], v[142:143], v[26:27], 0
	v_fma_f64 v[212:213], v[138:139], v[26:27], 0
	;; [unrolled: 1-line block ×5, first 2 shown]
	v_fma_f64 v[106:107], -v[180:181], v[190:191], 1.0
	s_delay_alu instid0(TRANS32_DEP_3) | instskip(NEXT) | instid1(TRANS32_DEP_2)
	v_fma_f64 v[108:109], -v[182:183], v[192:193], 1.0
	v_fma_f64 v[110:111], -v[184:185], v[194:195], 1.0
	s_delay_alu instid0(TRANS32_DEP_1) | instskip(NEXT) | instid1(VALU_DEP_4)
	v_fma_f64 v[112:113], -v[186:187], v[196:197], 1.0
	v_fmac_f64_e32 v[190:191], v[190:191], v[106:107]
	s_delay_alu instid0(VALU_DEP_4)
	v_fmac_f64_e32 v[192:193], v[192:193], v[108:109]
	global_load_b128 v[106:109], v[156:157], off offset:320
	v_fmac_f64_e32 v[194:195], v[194:195], v[110:111]
	v_fma_f64 v[110:111], v[158:159], v[26:27], 0
	v_fmac_f64_e32 v[196:197], v[196:197], v[112:113]
	v_fma_f64 v[112:113], -v[180:181], v[190:191], 1.0
	v_fma_f64 v[118:119], -v[182:183], v[192:193], 1.0
	;; [unrolled: 1-line block ×3, first 2 shown]
	v_add_f64_e64 v[28:29], v[28:29], -v[110:111]
	v_fma_f64 v[198:199], -v[186:187], v[196:197], 1.0
	s_wait_loadcnt 0x3
	v_fmac_f64_e32 v[94:95], v[154:155], v[130:131]
	v_fma_f64 v[130:131], v[144:145], v[26:27], 0
	v_fmac_f64_e32 v[96:97], v[154:155], v[132:133]
	v_fmac_f64_e32 v[190:191], v[190:191], v[112:113]
	global_load_b128 v[110:113], v[156:157], off offset:336
	v_fmac_f64_e32 v[192:193], v[192:193], v[118:119]
	v_div_scale_f64 v[118:119], s1, v[174:175], v[114:115], v[174:175]
	v_fmac_f64_e32 v[194:195], v[194:195], v[120:121]
	v_div_scale_f64 v[120:121], s2, v[178:179], v[114:115], v[178:179]
	v_fmac_f64_e32 v[196:197], v[196:197], v[198:199]
	v_fmac_f64_e32 v[200:201], v[124:125], v[28:29]
	;; [unrolled: 1-line block ×7, first 2 shown]
	v_mul_f64_e32 v[198:199], v[202:203], v[190:191]
	v_mul_f64_e32 v[206:207], v[204:205], v[192:193]
	;; [unrolled: 1-line block ×4, first 2 shown]
	v_add_f64_e64 v[200:201], v[94:95], -v[200:201]
	v_fma_f64 v[94:95], -v[180:181], v[198:199], v[202:203]
	v_fma_f64 v[180:181], -v[182:183], v[206:207], v[204:205]
	;; [unrolled: 1-line block ×4, first 2 shown]
	v_fmac_f64_e32 v[130:131], v[162:163], v[200:201]
	v_fmac_f64_e32 v[212:213], v[164:165], v[200:201]
	;; [unrolled: 1-line block ×5, first 2 shown]
	v_div_fmas_f64 v[94:95], v[94:95], v[190:191], v[198:199]
	s_mov_b32 vcc_lo, s0
	v_div_fmas_f64 v[132:133], v[180:181], v[192:193], v[206:207]
	s_mov_b32 vcc_lo, s1
	;; [unrolled: 2-line block ×3, first 2 shown]
	v_div_fmas_f64 v[120:121], v[120:121], v[196:197], v[210:211]
	v_add_f64_e64 v[130:131], v[96:97], -v[130:131]
	s_wait_loadcnt 0x3
	v_fmac_f64_e32 v[86:87], v[154:155], v[102:103]
	v_fmac_f64_e32 v[88:89], v[154:155], v[104:105]
	v_div_fixup_f64 v[116:117], v[94:95], v[114:115], v[116:117]
	global_load_b128 v[94:97], v[156:157], off offset:352
	v_div_fixup_f64 v[132:133], v[132:133], v[114:115], v[172:173]
	s_wait_loadcnt 0x3
	v_fmac_f64_e32 v[90:91], v[154:155], v[98:99]
	v_fmac_f64_e32 v[92:93], v[154:155], v[100:101]
	v_div_fixup_f64 v[118:119], v[118:119], v[114:115], v[174:175]
	v_div_fixup_f64 v[120:121], v[120:121], v[114:115], v[178:179]
	v_fmac_f64_e32 v[212:213], v[116:117], v[130:131]
	v_fmac_f64_e32 v[214:215], v[132:133], v[130:131]
	s_delay_alu instid0(VALU_DEP_4) | instskip(NEXT) | instid1(VALU_DEP_4)
	v_fmac_f64_e32 v[216:217], v[118:119], v[130:131]
	v_fmac_f64_e32 v[218:219], v[120:121], v[130:131]
	s_delay_alu instid0(VALU_DEP_4) | instskip(NEXT) | instid1(VALU_DEP_4)
	v_add_f64_e64 v[102:103], v[90:91], -v[212:213]
	v_add_f64_e64 v[104:105], v[92:93], -v[214:215]
	global_load_b128 v[90:93], v[156:157], off offset:384
	v_add_f64_e64 v[172:173], v[86:87], -v[216:217]
	v_add_f64_e64 v[174:175], v[88:89], -v[218:219]
	global_load_b128 v[86:89], v[156:157], off offset:368
	v_div_scale_f64 v[178:179], null, v[102:103], v[102:103], v[104:105]
	v_div_scale_f64 v[180:181], null, v[102:103], v[102:103], v[172:173]
	;; [unrolled: 1-line block ×3, first 2 shown]
	s_delay_alu instid0(VALU_DEP_3) | instskip(SKIP_3) | instid1(VALU_DEP_4)
	v_rcp_f64_e32 v[184:185], v[178:179]
	s_wait_loadcnt 0x4
	v_fmac_f64_e32 v[22:23], v[154:155], v[106:107]
	v_fmac_f64_e32 v[24:25], v[154:155], v[108:109]
	v_rcp_f64_e32 v[106:107], v[180:181]
	s_delay_alu instid0(VALU_DEP_3) | instskip(NEXT) | instid1(VALU_DEP_2)
	v_rcp_f64_e32 v[186:187], v[182:183]
	v_fma_f64 v[98:99], v[158:159], v[22:23], 0
	v_fma_f64 v[192:193], v[142:143], v[22:23], 0
	;; [unrolled: 1-line block ×4, first 2 shown]
	s_delay_alu instid0(TRANS32_DEP_3) | instskip(NEXT) | instid1(TRANS32_DEP_2)
	v_fma_f64 v[100:101], -v[178:179], v[184:185], 1.0
	v_fma_f64 v[108:109], -v[180:181], v[106:107], 1.0
	s_delay_alu instid0(TRANS32_DEP_1)
	v_fma_f64 v[190:191], -v[182:183], v[186:187], 1.0
	s_wait_loadcnt 0x3
	v_fmac_f64_e32 v[82:83], v[154:155], v[110:111]
	v_fmac_f64_e32 v[84:85], v[154:155], v[112:113]
	v_fma_f64 v[112:113], v[44:45], v[22:23], 0
	v_add_f64_e64 v[24:25], v[24:25], -v[98:99]
	v_fmac_f64_e32 v[184:185], v[184:185], v[100:101]
	global_load_b128 v[98:101], v[156:157], off offset:400
	v_fmac_f64_e32 v[106:107], v[106:107], v[108:109]
	v_fma_f64 v[108:109], v[144:145], v[22:23], 0
	v_fmac_f64_e32 v[186:187], v[186:187], v[190:191]
	v_fmac_f64_e32 v[192:193], v[124:125], v[24:25]
	;; [unrolled: 1-line block ×5, first 2 shown]
	v_fma_f64 v[110:111], -v[178:179], v[184:185], 1.0
	v_fma_f64 v[190:191], -v[180:181], v[106:107], 1.0
	v_fmac_f64_e32 v[108:109], v[40:41], v[24:25]
	v_fma_f64 v[194:195], -v[182:183], v[186:187], 1.0
	v_add_f64_e64 v[192:193], v[82:83], -v[192:193]
	v_div_scale_f64 v[82:83], vcc_lo, v[104:105], v[102:103], v[104:105]
	v_fmac_f64_e32 v[184:185], v[184:185], v[110:111]
	v_div_scale_f64 v[110:111], s0, v[172:173], v[102:103], v[172:173]
	v_fmac_f64_e32 v[106:107], v[106:107], v[190:191]
	v_div_scale_f64 v[190:191], s1, v[174:175], v[102:103], v[174:175]
	v_fmac_f64_e32 v[186:187], v[186:187], v[194:195]
	v_fma_f64 v[194:195], v[140:141], v[22:23], 0
	v_fmac_f64_e32 v[108:109], v[162:163], v[192:193]
	v_fmac_f64_e32 v[196:197], v[164:165], v[192:193]
	;; [unrolled: 1-line block ×4, first 2 shown]
	v_mul_f64_e32 v[202:203], v[82:83], v[184:185]
	v_mul_f64_e32 v[204:205], v[110:111], v[106:107]
	v_mul_f64_e32 v[206:207], v[190:191], v[186:187]
	v_fmac_f64_e32 v[194:195], v[126:127], v[24:25]
	s_wait_loadcnt 0x3
	v_fmac_f64_e32 v[74:75], v[154:155], v[94:95]
	v_fmac_f64_e32 v[76:77], v[154:155], v[96:97]
	v_add_f64_e64 v[108:109], v[84:85], -v[108:109]
	v_fma_f64 v[178:179], -v[178:179], v[202:203], v[82:83]
	global_load_b128 v[82:85], v[156:157], off offset:416
	v_fma_f64 v[110:111], -v[180:181], v[204:205], v[110:111]
	v_fma_f64 v[180:181], -v[182:183], v[206:207], v[190:191]
	v_fmac_f64_e32 v[194:195], v[168:169], v[192:193]
	v_fmac_f64_e32 v[196:197], v[116:117], v[108:109]
	;; [unrolled: 1-line block ×4, first 2 shown]
	v_div_fmas_f64 v[94:95], v[178:179], v[184:185], v[202:203]
	s_mov_b32 vcc_lo, s0
	v_div_fmas_f64 v[106:107], v[110:111], v[106:107], v[204:205]
	s_mov_b32 vcc_lo, s1
	v_div_fmas_f64 v[110:111], v[180:181], v[186:187], v[206:207]
	v_fmac_f64_e32 v[194:195], v[118:119], v[108:109]
	v_add_f64_e64 v[74:75], v[74:75], -v[196:197]
	s_wait_loadcnt 0x3
	v_fmac_f64_e32 v[18:19], v[154:155], v[90:91]
	v_fmac_f64_e32 v[20:21], v[154:155], v[92:93]
	v_div_fixup_f64 v[94:95], v[94:95], v[102:103], v[104:105]
	s_wait_loadcnt 0x2
	v_fmac_f64_e32 v[70:71], v[154:155], v[86:87]
	v_fmac_f64_e32 v[72:73], v[154:155], v[88:89]
	v_div_fixup_f64 v[104:105], v[106:107], v[102:103], v[172:173]
	v_div_fixup_f64 v[106:107], v[110:111], v[102:103], v[174:175]
	v_fma_f64 v[96:97], v[158:159], v[18:19], 0
	v_fma_f64 v[178:179], v[138:139], v[18:19], 0
	;; [unrolled: 1-line block ×3, first 2 shown]
	v_fmac_f64_e32 v[112:113], v[94:95], v[74:75]
	v_fmac_f64_e32 v[194:195], v[104:105], v[74:75]
	;; [unrolled: 1-line block ×3, first 2 shown]
	v_add_f64_e64 v[96:97], v[20:21], -v[96:97]
	v_fma_f64 v[20:21], v[144:145], v[18:19], 0
	v_add_f64_e64 v[76:77], v[76:77], -v[112:113]
	v_fma_f64 v[112:113], v[142:143], v[18:19], 0
	v_add_f64_e64 v[86:87], v[70:71], -v[194:195]
	v_add_f64_e64 v[88:89], v[72:73], -v[198:199]
	global_load_b128 v[70:73], v[156:157], off offset:432
	v_fmac_f64_e32 v[178:179], v[48:49], v[96:97]
	v_fmac_f64_e32 v[20:21], v[40:41], v[96:97]
	;; [unrolled: 1-line block ×4, first 2 shown]
	v_div_scale_f64 v[90:91], null, v[76:77], v[76:77], v[86:87]
	v_div_scale_f64 v[92:93], null, v[76:77], v[76:77], v[88:89]
	s_wait_loadcnt 0x2
	v_fmac_f64_e32 v[62:63], v[154:155], v[98:99]
	v_fmac_f64_e32 v[64:65], v[154:155], v[100:101]
	s_delay_alu instid0(VALU_DEP_4) | instskip(NEXT) | instid1(VALU_DEP_3)
	v_rcp_f64_e32 v[110:111], v[90:91]
	v_rcp_f64_e32 v[172:173], v[92:93]
	s_delay_alu instid0(VALU_DEP_2) | instskip(NEXT) | instid1(TRANS32_DEP_2)
	v_add_f64_e64 v[62:63], v[62:63], -v[112:113]
	v_fma_f64 v[98:99], -v[90:91], v[110:111], 1.0
	s_delay_alu instid0(TRANS32_DEP_1) | instskip(NEXT) | instid1(VALU_DEP_3)
	v_fma_f64 v[174:175], -v[92:93], v[172:173], 1.0
	v_fmac_f64_e32 v[20:21], v[162:163], v[62:63]
	v_fmac_f64_e32 v[178:179], v[164:165], v[62:63]
	;; [unrolled: 1-line block ×4, first 2 shown]
	v_fma_f64 v[98:99], v[44:45], v[18:19], 0
	v_fmac_f64_e32 v[172:173], v[172:173], v[174:175]
	v_fma_f64 v[174:175], v[140:141], v[18:19], 0
	v_add_f64_e64 v[64:65], v[64:65], -v[20:21]
	v_div_scale_f64 v[20:21], vcc_lo, v[86:87], v[76:77], v[86:87]
	v_fma_f64 v[100:101], -v[90:91], v[110:111], 1.0
	v_fmac_f64_e32 v[98:99], v[122:123], v[96:97]
	v_fma_f64 v[112:113], -v[92:93], v[172:173], 1.0
	v_fmac_f64_e32 v[174:175], v[126:127], v[96:97]
	s_wait_loadcnt 0x1
	v_fmac_f64_e32 v[54:55], v[154:155], v[82:83]
	v_fmac_f64_e32 v[178:179], v[116:117], v[64:65]
	;; [unrolled: 1-line block ×5, first 2 shown]
	v_div_scale_f64 v[100:101], s0, v[88:89], v[76:77], v[88:89]
	v_fmac_f64_e32 v[172:173], v[172:173], v[112:113]
	v_fmac_f64_e32 v[98:99], v[166:167], v[62:63]
	;; [unrolled: 1-line block ×3, first 2 shown]
	v_add_f64_e64 v[54:55], v[54:55], -v[178:179]
	v_mul_f64_e32 v[82:83], v[20:21], v[110:111]
	v_mul_f64_e32 v[112:113], v[100:101], v[172:173]
	v_fmac_f64_e32 v[98:99], v[132:133], v[64:65]
	v_fmac_f64_e32 v[174:175], v[118:119], v[64:65]
	;; [unrolled: 1-line block ×3, first 2 shown]
	v_fma_f64 v[20:21], -v[90:91], v[82:83], v[20:21]
	v_fma_f64 v[90:91], -v[92:93], v[112:113], v[100:101]
	v_fmac_f64_e32 v[98:99], v[94:95], v[54:55]
	v_fmac_f64_e32 v[174:175], v[104:105], v[54:55]
	s_delay_alu instid0(VALU_DEP_4) | instskip(SKIP_1) | instid1(VALU_DEP_4)
	v_div_fmas_f64 v[20:21], v[20:21], v[110:111], v[82:83]
	s_mov_b32 vcc_lo, s0
	v_div_fmas_f64 v[82:83], v[90:91], v[172:173], v[112:113]
	s_delay_alu instid0(VALU_DEP_4)
	v_add_f64_e64 v[56:57], v[56:57], -v[98:99]
	s_wait_loadcnt 0x0
	v_fmac_f64_e32 v[50:51], v[154:155], v[70:71]
	v_fmac_f64_e32 v[52:53], v[154:155], v[72:73]
	v_div_fixup_f64 v[84:85], v[20:21], v[76:77], v[86:87]
	v_div_scale_f64 v[70:71], null, v[42:43], v[42:43], v[78:79]
	v_div_fixup_f64 v[82:83], v[82:83], v[76:77], v[88:89]
	s_delay_alu instid0(VALU_DEP_3) | instskip(NEXT) | instid1(VALU_DEP_3)
	v_fmac_f64_e32 v[174:175], v[84:85], v[56:57]
	v_rcp_f64_e32 v[86:87], v[70:71]
	s_delay_alu instid0(VALU_DEP_2) | instskip(NEXT) | instid1(VALU_DEP_2)
	v_fmac_f64_e32 v[180:181], v[82:83], v[56:57]
	v_add_f64_e64 v[50:51], v[50:51], -v[174:175]
	s_delay_alu instid0(VALU_DEP_2) | instskip(NEXT) | instid1(TRANS32_DEP_1)
	v_add_f64_e64 v[52:53], v[52:53], -v[180:181]
	v_fma_f64 v[90:91], -v[70:71], v[86:87], 1.0
	s_delay_alu instid0(VALU_DEP_2) | instskip(SKIP_1) | instid1(VALU_DEP_3)
	v_div_scale_f64 v[20:21], null, v[50:51], v[50:51], v[52:53]
	v_div_scale_f64 v[92:93], vcc_lo, v[52:53], v[50:51], v[52:53]
	v_fmac_f64_e32 v[86:87], v[86:87], v[90:91]
	s_delay_alu instid0(VALU_DEP_3) | instskip(NEXT) | instid1(VALU_DEP_1)
	v_rcp_f64_e32 v[72:73], v[20:21]
	v_fma_f64 v[90:91], -v[70:71], v[86:87], 1.0
	s_delay_alu instid0(VALU_DEP_1) | instskip(NEXT) | instid1(TRANS32_DEP_1)
	v_fmac_f64_e32 v[86:87], v[86:87], v[90:91]
	v_fma_f64 v[88:89], -v[20:21], v[72:73], 1.0
	s_delay_alu instid0(VALU_DEP_1) | instskip(NEXT) | instid1(VALU_DEP_1)
	v_fmac_f64_e32 v[72:73], v[72:73], v[88:89]
	v_fma_f64 v[88:89], -v[20:21], v[72:73], 1.0
	s_delay_alu instid0(VALU_DEP_1) | instskip(SKIP_1) | instid1(VALU_DEP_2)
	v_fmac_f64_e32 v[72:73], v[72:73], v[88:89]
	v_div_scale_f64 v[88:89], s0, v[78:79], v[42:43], v[78:79]
	v_mul_f64_e32 v[90:91], v[92:93], v[72:73]
	s_delay_alu instid0(VALU_DEP_2) | instskip(NEXT) | instid1(VALU_DEP_2)
	v_mul_f64_e32 v[98:99], v[88:89], v[86:87]
	v_fma_f64 v[20:21], -v[20:21], v[90:91], v[92:93]
	s_delay_alu instid0(VALU_DEP_2) | instskip(NEXT) | instid1(VALU_DEP_2)
	v_fma_f64 v[70:71], -v[70:71], v[98:99], v[88:89]
	v_div_fmas_f64 v[72:73], v[20:21], v[72:73], v[90:91]
	s_mov_b32 vcc_lo, s0
	s_delay_alu instid0(VALU_DEP_2) | instskip(NEXT) | instid1(VALU_DEP_1)
	v_div_fmas_f64 v[20:21], v[70:71], v[86:87], v[98:99]
	v_div_fixup_f64 v[42:43], v[20:21], v[42:43], v[78:79]
	s_delay_alu instid0(VALU_DEP_1)
	v_fma_f64 v[20:21], v[42:43], v[46:47], 0
	v_fma_f64 v[38:39], v[42:43], v[38:39], 0
	;; [unrolled: 1-line block ×5, first 2 shown]
	v_add_f64_e64 v[20:21], v[80:81], -v[20:21]
	s_delay_alu instid0(VALU_DEP_1) | instskip(SKIP_1) | instid1(VALU_DEP_2)
	v_div_scale_f64 v[46:47], null, v[136:137], v[136:137], v[20:21]
	v_div_scale_f64 v[80:81], vcc_lo, v[20:21], v[136:137], v[20:21]
	v_rcp_f64_e32 v[70:71], v[46:47]
	v_nop
	s_delay_alu instid0(TRANS32_DEP_1) | instskip(NEXT) | instid1(VALU_DEP_1)
	v_fma_f64 v[78:79], -v[46:47], v[70:71], 1.0
	v_fmac_f64_e32 v[70:71], v[70:71], v[78:79]
	s_delay_alu instid0(VALU_DEP_1) | instskip(NEXT) | instid1(VALU_DEP_1)
	v_fma_f64 v[78:79], -v[46:47], v[70:71], 1.0
	v_fmac_f64_e32 v[70:71], v[70:71], v[78:79]
	s_delay_alu instid0(VALU_DEP_1) | instskip(NEXT) | instid1(VALU_DEP_1)
	v_mul_f64_e32 v[78:79], v[80:81], v[70:71]
	v_fma_f64 v[46:47], -v[46:47], v[78:79], v[80:81]
	s_delay_alu instid0(VALU_DEP_1) | instskip(NEXT) | instid1(VALU_DEP_1)
	v_div_fmas_f64 v[46:47], v[46:47], v[70:71], v[78:79]
	v_div_fixup_f64 v[46:47], v[46:47], v[136:137], v[20:21]
	s_delay_alu instid0(VALU_DEP_1) | instskip(SKIP_3) | instid1(VALU_DEP_4)
	v_fmac_f64_e32 v[38:39], v[46:47], v[176:177]
	v_fmac_f64_e32 v[34:35], v[46:47], v[36:37]
	;; [unrolled: 1-line block ×4, first 2 shown]
	v_add_f64_e64 v[20:21], v[66:67], -v[38:39]
	s_delay_alu instid0(VALU_DEP_1) | instskip(SKIP_1) | instid1(VALU_DEP_2)
	v_div_scale_f64 v[38:39], null, v[160:161], v[160:161], v[20:21]
	v_div_scale_f64 v[78:79], vcc_lo, v[20:21], v[160:161], v[20:21]
	v_rcp_f64_e32 v[66:67], v[38:39]
	v_nop
	s_delay_alu instid0(TRANS32_DEP_1) | instskip(NEXT) | instid1(VALU_DEP_1)
	v_fma_f64 v[70:71], -v[38:39], v[66:67], 1.0
	v_fmac_f64_e32 v[66:67], v[66:67], v[70:71]
	s_delay_alu instid0(VALU_DEP_1) | instskip(NEXT) | instid1(VALU_DEP_1)
	v_fma_f64 v[70:71], -v[38:39], v[66:67], 1.0
	v_fmac_f64_e32 v[66:67], v[66:67], v[70:71]
	s_delay_alu instid0(VALU_DEP_1) | instskip(NEXT) | instid1(VALU_DEP_1)
	v_mul_f64_e32 v[70:71], v[78:79], v[66:67]
	v_fma_f64 v[38:39], -v[38:39], v[70:71], v[78:79]
	s_delay_alu instid0(VALU_DEP_1) | instskip(SKIP_1) | instid1(VALU_DEP_2)
	v_div_fmas_f64 v[38:39], v[38:39], v[66:67], v[70:71]
	v_fma_f64 v[70:71], v[42:43], v[18:19], 0
	v_div_fixup_f64 v[38:39], v[38:39], v[160:161], v[20:21]
	s_delay_alu instid0(VALU_DEP_2) | instskip(NEXT) | instid1(VALU_DEP_2)
	v_fmac_f64_e32 v[70:71], v[46:47], v[96:97]
	v_fmac_f64_e32 v[34:35], v[38:39], v[188:189]
	;; [unrolled: 1-line block ×4, first 2 shown]
	s_delay_alu instid0(VALU_DEP_4) | instskip(NEXT) | instid1(VALU_DEP_4)
	v_fmac_f64_e32 v[70:71], v[38:39], v[62:63]
	v_add_f64_e64 v[20:21], v[68:69], -v[34:35]
	s_delay_alu instid0(VALU_DEP_1) | instskip(SKIP_1) | instid1(VALU_DEP_2)
	v_div_scale_f64 v[34:35], null, v[114:115], v[114:115], v[20:21]
	v_div_scale_f64 v[68:69], vcc_lo, v[20:21], v[114:115], v[20:21]
	v_rcp_f64_e32 v[36:37], v[34:35]
	v_nop
	s_delay_alu instid0(TRANS32_DEP_1) | instskip(NEXT) | instid1(VALU_DEP_1)
	v_fma_f64 v[66:67], -v[34:35], v[36:37], 1.0
	v_fmac_f64_e32 v[36:37], v[36:37], v[66:67]
	s_delay_alu instid0(VALU_DEP_1) | instskip(NEXT) | instid1(VALU_DEP_1)
	v_fma_f64 v[66:67], -v[34:35], v[36:37], 1.0
	v_fmac_f64_e32 v[36:37], v[36:37], v[66:67]
	s_delay_alu instid0(VALU_DEP_1) | instskip(NEXT) | instid1(VALU_DEP_1)
	v_mul_f64_e32 v[66:67], v[68:69], v[36:37]
	v_fma_f64 v[34:35], -v[34:35], v[66:67], v[68:69]
	s_delay_alu instid0(VALU_DEP_1) | instskip(NEXT) | instid1(VALU_DEP_1)
	v_div_fmas_f64 v[28:29], v[34:35], v[36:37], v[66:67]
	v_div_fixup_f64 v[28:29], v[28:29], v[114:115], v[20:21]
	s_delay_alu instid0(VALU_DEP_1) | instskip(SKIP_2) | instid1(VALU_DEP_3)
	v_fmac_f64_e32 v[26:27], v[28:29], v[130:131]
	v_fmac_f64_e32 v[22:23], v[28:29], v[108:109]
	;; [unrolled: 1-line block ×3, first 2 shown]
	v_add_f64_e64 v[20:21], v[58:59], -v[26:27]
	s_delay_alu instid0(VALU_DEP_1) | instskip(SKIP_1) | instid1(VALU_DEP_2)
	v_div_scale_f64 v[26:27], null, v[102:103], v[102:103], v[20:21]
	v_div_scale_f64 v[58:59], vcc_lo, v[20:21], v[102:103], v[20:21]
	v_rcp_f64_e32 v[34:35], v[26:27]
	v_nop
	s_delay_alu instid0(TRANS32_DEP_1) | instskip(NEXT) | instid1(VALU_DEP_1)
	v_fma_f64 v[36:37], -v[26:27], v[34:35], 1.0
	v_fmac_f64_e32 v[34:35], v[34:35], v[36:37]
	s_delay_alu instid0(VALU_DEP_1) | instskip(NEXT) | instid1(VALU_DEP_1)
	v_fma_f64 v[36:37], -v[26:27], v[34:35], 1.0
	v_fmac_f64_e32 v[34:35], v[34:35], v[36:37]
	s_delay_alu instid0(VALU_DEP_1) | instskip(NEXT) | instid1(VALU_DEP_1)
	v_mul_f64_e32 v[36:37], v[58:59], v[34:35]
	v_fma_f64 v[24:25], -v[26:27], v[36:37], v[58:59]
	s_delay_alu instid0(VALU_DEP_1) | instskip(NEXT) | instid1(VALU_DEP_1)
	v_div_fmas_f64 v[24:25], v[24:25], v[34:35], v[36:37]
	v_div_fixup_f64 v[58:59], v[24:25], v[102:103], v[20:21]
	global_load_b128 v[24:27], v[156:157], off offset:464
	v_fmac_f64_e32 v[22:23], v[58:59], v[74:75]
	v_fmac_f64_e32 v[70:71], v[58:59], v[54:55]
	s_delay_alu instid0(VALU_DEP_2) | instskip(SKIP_3) | instid1(VALU_DEP_2)
	v_add_f64_e64 v[60:61], v[60:61], -v[22:23]
	global_load_b128 v[20:23], v[156:157], off offset:448
	v_div_scale_f64 v[66:67], null, v[76:77], v[76:77], v[60:61]
	v_div_scale_f64 v[18:19], vcc_lo, v[60:61], v[76:77], v[60:61]
	v_rcp_f64_e32 v[68:69], v[66:67]
	v_nop
	s_delay_alu instid0(TRANS32_DEP_1) | instskip(NEXT) | instid1(VALU_DEP_1)
	v_fma_f64 v[34:35], -v[66:67], v[68:69], 1.0
	v_fmac_f64_e32 v[68:69], v[68:69], v[34:35]
	s_delay_alu instid0(VALU_DEP_1) | instskip(NEXT) | instid1(VALU_DEP_1)
	v_fma_f64 v[34:35], -v[66:67], v[68:69], 1.0
	v_fmac_f64_e32 v[68:69], v[68:69], v[34:35]
	global_load_b128 v[34:37], v[156:157], off offset:480
	v_mul_f64_e32 v[74:75], v[18:19], v[68:69]
	s_wait_loadcnt 0x2
	v_fmac_f64_e32 v[14:15], v[154:155], v[24:25]
	v_fmac_f64_e32 v[16:17], v[154:155], v[26:27]
	s_delay_alu instid0(VALU_DEP_3) | instskip(NEXT) | instid1(VALU_DEP_1)
	v_fma_f64 v[18:19], -v[66:67], v[74:75], v[18:19]
	v_div_fmas_f64 v[18:19], v[18:19], v[68:69], v[74:75]
	s_wait_loadcnt 0x1
	v_fmac_f64_e32 v[10:11], v[154:155], v[20:21]
	v_fmac_f64_e32 v[12:13], v[154:155], v[22:23]
	s_delay_alu instid0(VALU_DEP_3)
	v_div_fixup_f64 v[54:55], v[18:19], v[76:77], v[60:61]
	global_load_b128 v[18:21], v[156:157], off offset:496
	v_fma_f64 v[22:23], v[158:159], v[10:11], 0
	v_fma_f64 v[24:25], v[144:145], v[10:11], 0
	;; [unrolled: 1-line block ×5, first 2 shown]
	v_fmac_f64_e32 v[70:71], v[54:55], v[56:57]
	v_fma_f64 v[56:57], v[142:143], v[10:11], 0
	v_add_f64_e64 v[12:13], v[12:13], -v[22:23]
	s_delay_alu instid0(VALU_DEP_3) | instskip(NEXT) | instid1(VALU_DEP_2)
	v_add_f64_e64 v[30:31], v[30:31], -v[70:71]
	v_fmac_f64_e32 v[56:57], v[124:125], v[12:13]
	v_fmac_f64_e32 v[24:25], v[40:41], v[12:13]
	;; [unrolled: 1-line block ×5, first 2 shown]
	v_div_scale_f64 v[22:23], null, v[50:51], v[50:51], v[30:31]
	v_add_f64_e64 v[14:15], v[14:15], -v[56:57]
	s_delay_alu instid0(VALU_DEP_2) | instskip(NEXT) | instid1(VALU_DEP_1)
	v_rcp_f64_e32 v[62:63], v[22:23]
	v_fmac_f64_e32 v[24:25], v[162:163], v[14:15]
	v_fmac_f64_e32 v[60:61], v[164:165], v[14:15]
	;; [unrolled: 1-line block ×4, first 2 shown]
	s_delay_alu instid0(TRANS32_DEP_1)
	v_fma_f64 v[56:57], -v[22:23], v[62:63], 1.0
	v_add_f64_e64 v[16:17], v[16:17], -v[24:25]
	v_fma_f64 v[24:25], v[10:11], v[134:135], 0
	v_fma_f64 v[10:11], v[42:43], v[10:11], 0
	s_wait_loadcnt 0x1
	v_fmac_f64_e32 v[6:7], v[154:155], v[34:35]
	v_fmac_f64_e32 v[8:9], v[154:155], v[36:37]
	;; [unrolled: 1-line block ×7, first 2 shown]
	v_div_scale_f64 v[12:13], vcc_lo, v[30:31], v[50:51], v[30:31]
	v_fmac_f64_e32 v[64:65], v[118:119], v[16:17]
	v_fma_f64 v[34:35], -v[22:23], v[62:63], 1.0
	v_add_f64_e64 v[6:7], v[6:7], -v[60:61]
	v_fmac_f64_e32 v[24:25], v[14:15], v[170:171]
	v_fmac_f64_e32 v[10:11], v[38:39], v[14:15]
	s_delay_alu instid0(VALU_DEP_4) | instskip(NEXT) | instid1(VALU_DEP_4)
	v_fmac_f64_e32 v[62:63], v[62:63], v[34:35]
	v_fmac_f64_e32 v[26:27], v[94:95], v[6:7]
	s_delay_alu instid0(VALU_DEP_4)
	v_fmac_f64_e32 v[24:25], v[16:17], v[120:121]
	v_fmac_f64_e32 v[64:65], v[104:105], v[6:7]
	;; [unrolled: 1-line block ×3, first 2 shown]
	v_mul_f64_e32 v[14:15], v[12:13], v[62:63]
	v_add_f64_e64 v[8:9], v[8:9], -v[26:27]
	v_fmac_f64_e32 v[24:25], v[6:7], v[106:107]
	s_delay_alu instid0(VALU_DEP_4)
	v_fmac_f64_e32 v[10:11], v[58:59], v[6:7]
	s_wait_loadcnt 0x0
	v_fmac_f64_e32 v[2:3], v[154:155], v[18:19]
	v_fmac_f64_e32 v[4:5], v[154:155], v[20:21]
	v_add_nc_u64_e32 v[18:19], s[38:39], v[152:153]
	v_fma_f64 v[12:13], -v[22:23], v[14:15], v[12:13]
	v_fmac_f64_e32 v[64:65], v[84:85], v[8:9]
	v_fmac_f64_e32 v[24:25], v[8:9], v[82:83]
	;; [unrolled: 1-line block ×3, first 2 shown]
	s_delay_alu instid0(VALU_DEP_4) | instskip(SKIP_2) | instid1(VALU_DEP_3)
	v_div_fmas_f64 v[6:7], v[12:13], v[62:63], v[14:15]
	v_div_fixup_f64 v[12:13], v[72:73], v[50:51], v[52:53]
	v_add_f64_e64 v[2:3], v[2:3], -v[64:65]
	v_div_fixup_f64 v[6:7], v[6:7], v[50:51], v[30:31]
	s_delay_alu instid0(VALU_DEP_2) | instskip(NEXT) | instid1(VALU_DEP_2)
	v_fmac_f64_e32 v[24:25], v[2:3], v[12:13]
	v_fmac_f64_e32 v[10:11], v[6:7], v[2:3]
	s_delay_alu instid0(VALU_DEP_2) | instskip(NEXT) | instid1(VALU_DEP_2)
	v_add_f64_e64 v[2:3], v[4:5], -v[24:25]
	v_add_f64_e64 v[4:5], v[32:33], -v[10:11]
	s_delay_alu instid0(VALU_DEP_1) | instskip(NEXT) | instid1(VALU_DEP_1)
	v_div_scale_f64 v[8:9], null, v[2:3], v[2:3], v[4:5]
	v_rcp_f64_e32 v[10:11], v[8:9]
	v_nop
	s_delay_alu instid0(TRANS32_DEP_1) | instskip(NEXT) | instid1(VALU_DEP_1)
	v_fma_f64 v[14:15], -v[8:9], v[10:11], 1.0
	v_fmac_f64_e32 v[10:11], v[10:11], v[14:15]
	s_delay_alu instid0(VALU_DEP_1) | instskip(NEXT) | instid1(VALU_DEP_1)
	v_fma_f64 v[14:15], -v[8:9], v[10:11], 1.0
	v_fmac_f64_e32 v[10:11], v[10:11], v[14:15]
	v_div_scale_f64 v[14:15], vcc_lo, v[4:5], v[2:3], v[4:5]
	s_delay_alu instid0(VALU_DEP_1) | instskip(NEXT) | instid1(VALU_DEP_1)
	v_mul_f64_e32 v[16:17], v[14:15], v[10:11]
	v_fma_f64 v[8:9], -v[8:9], v[16:17], v[14:15]
	s_delay_alu instid0(VALU_DEP_1) | instskip(SKIP_2) | instid1(VALU_DEP_2)
	v_div_fmas_f64 v[8:9], v[8:9], v[10:11], v[16:17]
	v_cmp_le_i64_e32 vcc_lo, s[44:45], v[150:151]
	s_or_b32 s54, vcc_lo, s54
	v_div_fixup_f64 v[4:5], v[8:9], v[2:3], v[4:5]
	s_delay_alu instid0(VALU_DEP_1) | instskip(NEXT) | instid1(VALU_DEP_1)
	v_fma_f64 v[2:3], v[12:13], v[4:5], 0
	v_add_f64_e64 v[2:3], v[6:7], -v[2:3]
	s_delay_alu instid0(VALU_DEP_1) | instskip(NEXT) | instid1(VALU_DEP_1)
	v_fma_f64 v[6:7], v[84:85], v[2:3], 0
	v_fmac_f64_e32 v[6:7], v[82:83], v[4:5]
	s_delay_alu instid0(VALU_DEP_1) | instskip(NEXT) | instid1(VALU_DEP_1)
	v_add_f64_e64 v[8:9], v[54:55], -v[6:7]
	v_fma_f64 v[6:7], v[94:95], v[8:9], 0
	s_delay_alu instid0(VALU_DEP_1) | instskip(NEXT) | instid1(VALU_DEP_1)
	v_fmac_f64_e32 v[6:7], v[104:105], v[2:3]
	v_fmac_f64_e32 v[6:7], v[106:107], v[4:5]
	s_delay_alu instid0(VALU_DEP_1) | instskip(SKIP_4) | instid1(VALU_DEP_1)
	v_add_f64_e64 v[6:7], v[58:59], -v[6:7]
	s_clause 0x1
	global_store_b128 v[18:19], v[2:5], off offset:48
	global_store_b128 v[18:19], v[6:9], off offset:32
	v_fma_f64 v[10:11], v[116:117], v[6:7], 0
	v_fmac_f64_e32 v[10:11], v[132:133], v[8:9]
	s_delay_alu instid0(VALU_DEP_1) | instskip(NEXT) | instid1(VALU_DEP_1)
	v_fmac_f64_e32 v[10:11], v[118:119], v[2:3]
	v_fmac_f64_e32 v[10:11], v[120:121], v[4:5]
	s_delay_alu instid0(VALU_DEP_1) | instskip(NEXT) | instid1(VALU_DEP_1)
	v_add_f64_e64 v[12:13], v[28:29], -v[10:11]
	v_fma_f64 v[10:11], v[162:163], v[12:13], 0
	s_delay_alu instid0(VALU_DEP_1) | instskip(NEXT) | instid1(VALU_DEP_1)
	v_fmac_f64_e32 v[10:11], v[164:165], v[6:7]
	v_fmac_f64_e32 v[10:11], v[166:167], v[8:9]
	s_delay_alu instid0(VALU_DEP_1) | instskip(NEXT) | instid1(VALU_DEP_1)
	v_fmac_f64_e32 v[10:11], v[168:169], v[2:3]
	v_fmac_f64_e32 v[10:11], v[170:171], v[4:5]
	s_delay_alu instid0(VALU_DEP_1) | instskip(NEXT) | instid1(VALU_DEP_1)
	v_add_f64_e64 v[10:11], v[38:39], -v[10:11]
	v_fma_f64 v[14:15], v[124:125], v[10:11], 0
	s_delay_alu instid0(VALU_DEP_1) | instskip(NEXT) | instid1(VALU_DEP_1)
	v_fmac_f64_e32 v[14:15], v[40:41], v[12:13]
	v_fmac_f64_e32 v[14:15], v[48:49], v[6:7]
	s_delay_alu instid0(VALU_DEP_1) | instskip(NEXT) | instid1(VALU_DEP_1)
	v_fmac_f64_e32 v[14:15], v[122:123], v[8:9]
	v_fmac_f64_e32 v[14:15], v[126:127], v[2:3]
	s_delay_alu instid0(VALU_DEP_1) | instskip(NEXT) | instid1(VALU_DEP_1)
	v_fmac_f64_e32 v[14:15], v[128:129], v[4:5]
	v_add_f64_e64 v[16:17], v[46:47], -v[14:15]
	s_delay_alu instid0(VALU_DEP_1) | instskip(NEXT) | instid1(VALU_DEP_1)
	v_fma_f64 v[14:15], v[158:159], v[16:17], 0
	v_fmac_f64_e32 v[14:15], v[142:143], v[10:11]
	s_delay_alu instid0(VALU_DEP_1) | instskip(NEXT) | instid1(VALU_DEP_1)
	v_fmac_f64_e32 v[14:15], v[144:145], v[12:13]
	v_fmac_f64_e32 v[14:15], v[138:139], v[6:7]
	s_delay_alu instid0(VALU_DEP_1) | instskip(NEXT) | instid1(VALU_DEP_1)
	v_fmac_f64_e32 v[14:15], v[44:45], v[8:9]
	;; [unrolled: 3-line block ×3, first 2 shown]
	v_add_f64_e64 v[14:15], v[42:43], -v[14:15]
	s_clause 0x1
	global_store_b128 v[18:19], v[10:13], off offset:16
	global_store_b128 v[18:19], v[14:17], off
	s_wait_xcnt 0x0
	s_and_not1_b32 exec_lo, exec_lo, s54
	s_cbranch_execz .LBB0_6
.LBB0_10:                               ;   Parent Loop BB0_7 Depth=1
                                        ; =>  This Loop Header: Depth=2
                                        ;       Child Loop BB0_12 Depth 3
	s_delay_alu instid0(VALU_DEP_1)
	v_lshl_add_u64 v[2:3], v[150:151], 3, s[46:47]
	s_mov_b64 s[52:53], 0
	global_load_b64 v[154:155], v[2:3], off
	s_wait_loadcnt 0x0
	v_lshlrev_b64_e32 v[152:153], 6, v[154:155]
	v_lshlrev_b64_e32 v[156:157], 9, v[154:155]
	v_mul_lo_u32 v148, v155, 48
	v_mad_nc_u64_u32 v[160:161], v154, 48, s[48:49]
	s_wait_xcnt 0x0
	s_delay_alu instid0(VALU_DEP_4) | instskip(NEXT) | instid1(VALU_DEP_4)
	v_add_nc_u64_e32 v[2:3], s[36:37], v[152:153]
	v_add_nc_u64_e32 v[158:159], s[10:11], v[156:157]
	s_clause 0x3
	global_load_b128 v[30:33], v[2:3], off offset:48
	global_load_b128 v[58:61], v[2:3], off offset:32
	;; [unrolled: 1-line block ×3, first 2 shown]
	global_load_b128 v[78:81], v[2:3], off
	s_clause 0x1f
	global_load_b128 v[134:137], v[158:159], off offset:48
	global_load_b128 v[138:141], v[158:159], off offset:32
	;; [unrolled: 1-line block ×3, first 2 shown]
	global_load_b128 v[42:45], v[158:159], off
	global_load_b128 v[122:125], v[158:159], off offset:112
	global_load_b128 v[126:129], v[158:159], off offset:96
	;; [unrolled: 1-line block ×7, first 2 shown]
	; meta instruction
	global_load_b128 v[38:41], v[158:159], off offset:128
	global_load_b128 v[98:101], v[158:159], off offset:240
	;; [unrolled: 1-line block ×21, first 2 shown]
	s_wait_xcnt 0x0
	v_mad_nc_u64_u32 v[158:159], v154, 48, s[40:41]
	s_delay_alu instid0(VALU_DEP_1)
	v_dual_add_nc_u32 v161, v148, v161 :: v_dual_add_nc_u32 v159, v148, v159
	s_branch .LBB0_12
.LBB0_11:                               ;   in Loop: Header=BB0_12 Depth=3
	s_wait_xcnt 0x0
	s_or_b32 exec_lo, exec_lo, s55
	s_add_nc_u64 s[52:53], s[52:53], 8
	s_delay_alu instid0(SALU_CYCLE_1)
	s_cmp_eq_u64 s[52:53], 48
	s_cbranch_scc1 .LBB0_9
.LBB0_12:                               ;   Parent Loop BB0_7 Depth=1
                                        ;     Parent Loop BB0_10 Depth=2
                                        ; =>    This Inner Loop Header: Depth=3
	s_delay_alu instid0(VALU_DEP_1) | instskip(NEXT) | instid1(VALU_DEP_2)
	v_add_nc_u64_e32 v[162:163], s[52:53], v[160:161]
	v_add_nc_u64_e32 v[164:165], s[52:53], v[158:159]
	global_load_b64 v[162:163], v[162:163], off
	s_wait_loadcnt 0x0
	v_lshl_add_u64 v[166:167], v[162:163], 3, s[50:51]
	global_load_b64 v[168:169], v[164:165], off
	global_load_b64 v[162:163], v[166:167], off
	s_wait_loadcnt 0x1
	v_cmp_ne_u64_e32 vcc_lo, 0, v[168:169]
	s_wait_loadcnt 0x0
	v_cmp_lt_i64_e64 s0, -1, v[162:163]
	s_and_b32 s0, s0, vcc_lo
	s_wait_xcnt 0x0
	s_and_saveexec_b32 s55, s0
	s_cbranch_execz .LBB0_11
; %bb.13:                               ;   in Loop: Header=BB0_12 Depth=3
	v_lshlrev_b64_e32 v[180:181], 5, v[162:163]
	v_lshlrev_b64_e32 v[162:163], 8, v[162:163]
	s_delay_alu instid0(VALU_DEP_2) | instskip(SKIP_3) | instid1(VALU_DEP_1)
	v_add_nc_u64_e32 v[164:165], s[24:25], v[180:181]
	global_load_b64 v[164:165], v[164:165], off
	s_wait_loadcnt 0x0
	v_ashrrev_i32_e32 v148, 31, v165
	v_lshrrev_b32_e32 v148, 29, v148
	s_wait_xcnt 0x0
	s_delay_alu instid0(VALU_DEP_1) | instskip(SKIP_1) | instid1(VALU_DEP_2)
	v_add_nc_u64_e32 v[164:165], v[164:165], v[148:149]
	v_mov_b32_e32 v148, s27
	v_ashrrev_i64 v[164:165], 3, v[164:165]
	s_delay_alu instid0(VALU_DEP_1) | instskip(SKIP_1) | instid1(VALU_DEP_4)
	v_cmp_eq_u64_e32 vcc_lo, v[154:155], v[164:165]
	v_mov_b32_e32 v164, s26
	v_cndmask_b32_e32 v165, s25, v148, vcc_lo
	s_delay_alu instid0(VALU_DEP_2) | instskip(SKIP_1) | instid1(VALU_DEP_2)
	v_cndmask_b32_e32 v164, s24, v164, vcc_lo
	v_cndmask_b32_e64 v148, 0, 0x80, vcc_lo
	v_add_nc_u64_e32 v[172:173], v[164:165], v[180:181]
	s_clause 0x1
	global_load_b128 v[164:167], v[172:173], off
	global_load_b128 v[168:171], v[172:173], off offset:16
	s_wait_xcnt 0x0
	v_add_nc_u64_e32 v[172:173], s[12:13], v[148:149]
	v_mov_b32_e32 v148, s25
	s_delay_alu instid0(VALU_DEP_2) | instskip(NEXT) | instid1(VALU_DEP_1)
	v_add_nc_u64_e32 v[162:163], v[172:173], v[162:163]
	v_add_nc_u64_e32 v[204:205], s[20:21], v[162:163]
	global_load_b128 v[172:175], v[204:205], off
	s_wait_loadcnt 0x2
	v_lshl_add_u64 v[162:163], v[164:165], 3, s[14:15]
	v_lshl_add_u64 v[166:167], v[166:167], 3, s[14:15]
	s_wait_loadcnt 0x1
	v_lshl_add_u64 v[170:171], v[170:171], 3, s[14:15]
	global_load_b64 v[206:207], v[162:163], off
	global_load_b128 v[162:165], v[204:205], off offset:16
	global_load_b64 v[208:209], v[166:167], off
	global_load_b128 v[176:179], v[204:205], off offset:32
	s_wait_xcnt 0x1
	v_mov_b32_e32 v166, s24
	v_cndmask_b32_e32 v167, s27, v148, vcc_lo
	s_delay_alu instid0(VALU_DEP_2) | instskip(SKIP_2) | instid1(VALU_DEP_2)
	v_cndmask_b32_e32 v166, s26, v166, vcc_lo
	s_wait_loadcnt 0x2
	v_mul_f64_e32 v[162:163], v[146:147], v[162:163]
	v_add_nc_u64_e32 v[210:211], v[166:167], v[180:181]
	v_lshl_add_u64 v[180:181], v[168:169], 3, s[14:15]
	global_load_b128 v[166:169], v[210:211], off
	s_clause 0x1
	global_load_b64 v[212:213], v[180:181], off
	global_load_b64 v[214:215], v[170:171], off
	s_clause 0x3
	global_load_b128 v[180:183], v[204:205], off offset:48
	global_load_b128 v[184:187], v[204:205], off offset:64
	;; [unrolled: 1-line block ×6, first 2 shown]
	s_wait_xcnt 0x6
	v_mul_f64_e32 v[170:171], v[146:147], v[172:173]
	v_mul_f64_e32 v[172:173], v[146:147], v[174:175]
	;; [unrolled: 1-line block ×3, first 2 shown]
	s_delay_alu instid0(VALU_DEP_3) | instskip(SKIP_1) | instid1(VALU_DEP_1)
	v_fma_f64 v[170:171], v[170:171], v[206:207], 0
	s_wait_loadcnt 0xa
	v_fmac_f64_e32 v[170:171], v[172:173], v[208:209]
	s_wait_loadcnt 0x9
	v_mul_f64_e32 v[172:173], v[146:147], v[176:177]
	s_delay_alu instid0(VALU_DEP_1) | instskip(SKIP_3) | instid1(VALU_DEP_4)
	v_fma_f64 v[172:173], v[172:173], v[206:207], 0
	s_wait_loadcnt 0x8
	v_ashrrev_i32_e32 v148, 31, v167
	s_wait_loadcnt 0x7
	v_fmac_f64_e32 v[170:171], v[162:163], v[212:213]
	v_dual_mul_f64 v[162:163], v[146:147], v[178:179] :: v_dual_ashrrev_i32 v169, 31, v169
	s_delay_alu instid0(VALU_DEP_1) | instskip(NEXT) | instid1(VALU_DEP_1)
	v_dual_lshrrev_b32 v148, 29, v148 :: v_dual_lshrrev_b32 v169, 29, v169
	v_dual_add_nc_u32 v148, v166, v148 :: v_dual_add_nc_u32 v169, v168, v169
	s_delay_alu instid0(VALU_DEP_1) | instskip(NEXT) | instid1(VALU_DEP_1)
	v_and_b32_e32 v148, -8, v148
	v_dual_sub_nc_u32 v148, v166, v148 :: v_dual_bitop2_b32 v169, -8, v169 bitop3:0x40
	s_delay_alu instid0(VALU_DEP_1)
	v_cmp_eq_u32_e32 vcc_lo, 1, v148
	v_cmp_eq_u32_e64 s0, 2, v148
	v_cndmask_b32_e32 v166, v79, v81, vcc_lo
	s_wait_loadcnt 0x6
	v_fmac_f64_e32 v[170:171], v[164:165], v[214:215]
	v_fmac_f64_e32 v[172:173], v[162:163], v[208:209]
	s_delay_alu instid0(VALU_DEP_3) | instskip(SKIP_1) | instid1(VALU_DEP_1)
	v_cndmask_b32_e64 v164, v166, v67, s0
	v_cndmask_b32_e32 v167, v78, v80, vcc_lo
	v_cndmask_b32_e64 v165, v167, v66, s0
	v_cmp_eq_u32_e64 s1, 3, v148
	v_cmp_eq_u32_e64 s2, 4, v148
	;; [unrolled: 1-line block ×5, first 2 shown]
	v_dual_cndmask_b32 v166, v164, v69, s1 :: v_dual_cndmask_b32 v167, v165, v68, s1
	v_cmp_eq_u32_e64 s6, 0, v148
	s_delay_alu instid0(VALU_DEP_2) | instskip(NEXT) | instid1(VALU_DEP_1)
	v_dual_cndmask_b32 v162, v166, v59, s2 :: v_dual_cndmask_b32 v163, v167, v58, s2
	v_dual_cndmask_b32 v166, v162, v61, s3 :: v_dual_cndmask_b32 v167, v163, v60, s3
	s_delay_alu instid0(VALU_DEP_1) | instskip(NEXT) | instid1(VALU_DEP_1)
	v_dual_cndmask_b32 v166, v166, v31, s4 :: v_dual_cndmask_b32 v174, v167, v30, s4
	v_cndmask_b32_e64 v167, v166, v33, s5
	s_delay_alu instid0(VALU_DEP_2) | instskip(NEXT) | instid1(VALU_DEP_1)
	v_cndmask_b32_e64 v166, v174, v32, s5
	v_add_f64_e64 v[166:167], v[166:167], -v[170:171]
	s_wait_loadcnt 0x5
	v_mul_f64_e32 v[164:165], v[146:147], v[180:181]
	s_wait_loadcnt 0x4
	v_mul_f64_e32 v[162:163], v[146:147], v[184:185]
	v_mul_f64_e32 v[170:171], v[146:147], v[182:183]
	s_wait_loadcnt 0x2
	v_mul_f64_e32 v[174:175], v[146:147], v[192:193]
	v_sub_nc_u32_e32 v176, v168, v169
	v_dual_mul_f64 v[168:169], v[146:147], v[188:189] :: v_dual_cndmask_b32 v68, v68, v166, s1
	v_cndmask_b32_e32 v81, v81, v167, vcc_lo
	v_fmac_f64_e32 v[172:173], v[164:165], v[212:213]
	v_mul_f64_e32 v[164:165], v[146:147], v[186:187]
	v_cndmask_b32_e32 v80, v80, v166, vcc_lo
	v_fma_f64 v[162:163], v[162:163], v[206:207], 0
	v_cndmask_b32_e64 v78, v78, v166, s6
	v_cmp_eq_u32_e64 s7, 1, v176
	v_dual_cndmask_b32 v79, v79, v167, s6 :: v_dual_cndmask_b32 v148, v66, v166, s0
	v_cmp_eq_u32_e64 s8, 2, v176
	s_delay_alu instid0(VALU_DEP_3) | instskip(NEXT) | instid1(VALU_DEP_3)
	v_dual_cndmask_b32 v177, v67, v167, s0 :: v_dual_cndmask_b32 v67, v78, v80, s7
	v_cndmask_b32_e64 v66, v79, v81, s7
	v_cmp_eq_u32_e64 s9, 3, v176
	v_cndmask_b32_e64 v69, v69, v167, s1
	v_cmp_eq_u32_e32 vcc_lo, 4, v176
	v_cmp_eq_u32_e64 s0, 5, v176
	v_cmp_eq_u32_e64 s1, 6, v176
	v_dual_cndmask_b32 v178, v30, v166, s4 :: v_dual_cndmask_b32 v179, v31, v167, s4
	v_cndmask_b32_e64 v67, v67, v148, s8
	v_fmac_f64_e32 v[172:173], v[170:171], v[214:215]
	v_cndmask_b32_e64 v170, v58, v166, s2
	v_dual_cndmask_b32 v66, v66, v177, s8 :: v_dual_cndmask_b32 v171, v59, v167, s2
	s_delay_alu instid0(VALU_DEP_4) | instskip(SKIP_1) | instid1(VALU_DEP_3)
	v_cndmask_b32_e64 v59, v67, v68, s9
	v_fmac_f64_e32 v[162:163], v[164:165], v[208:209]
	v_dual_cndmask_b32 v164, v60, v166, s3 :: v_dual_cndmask_b32 v58, v66, v69, s9
	s_delay_alu instid0(VALU_DEP_3) | instskip(SKIP_1) | instid1(VALU_DEP_3)
	v_dual_cndmask_b32 v165, v61, v167, s3 :: v_dual_cndmask_b32 v59, v59, v170, vcc_lo
	v_cmp_eq_u32_e64 s2, 7, v176
	v_dual_cndmask_b32 v166, v32, v166, s5 :: v_dual_cndmask_b32 v58, v58, v171, vcc_lo
	v_cmp_eq_u32_e64 s3, 0, v176
	s_delay_alu instid0(VALU_DEP_4) | instskip(NEXT) | instid1(VALU_DEP_1)
	v_dual_cndmask_b32 v31, v59, v164, s0 :: v_dual_cndmask_b32 v167, v33, v167, s5
	v_dual_cndmask_b32 v30, v58, v165, s0 :: v_dual_cndmask_b32 v32, v31, v178, s1
	s_delay_alu instid0(VALU_DEP_1) | instskip(NEXT) | instid1(VALU_DEP_1)
	v_cndmask_b32_e64 v30, v30, v179, s1
	v_dual_cndmask_b32 v31, v30, v167, s2 :: v_dual_cndmask_b32 v30, v32, v166, s2
	s_wait_loadcnt 0x1
	v_ashrrev_i32_e32 v32, 31, v197
	s_delay_alu instid0(VALU_DEP_1) | instskip(NEXT) | instid1(VALU_DEP_3)
	v_dual_mul_f64 v[32:33], v[146:147], v[190:191] :: v_dual_lshrrev_b32 v58, 29, v32
	v_add_f64_e64 v[30:31], v[30:31], -v[172:173]
	v_fmac_f64_e32 v[162:163], v[168:169], v[212:213]
	s_delay_alu instid0(VALU_DEP_3) | instskip(NEXT) | instid1(VALU_DEP_1)
	v_add_nc_u32_e32 v60, v196, v58
	v_dual_mul_f64 v[58:59], v[146:147], v[194:195] :: v_dual_bitop2_b32 v66, -8, v60 bitop3:0x40
	v_fma_f64 v[60:61], v[174:175], v[206:207], 0
	s_wait_loadcnt 0x0
	s_delay_alu instid0(VALU_DEP_2) | instskip(NEXT) | instid1(VALU_DEP_1)
	v_dual_mul_f64 v[66:67], v[146:147], v[200:201] :: v_dual_sub_nc_u32 v168, v196, v66
	v_cmp_eq_u32_e64 s4, 1, v168
	v_cmp_eq_u32_e64 s5, 2, v168
	;; [unrolled: 1-line block ×3, first 2 shown]
	v_dual_cndmask_b32 v78, v78, v30, s3 :: v_dual_cndmask_b32 v81, v81, v31, s7
	v_dual_cndmask_b32 v79, v79, v31, s3 :: v_dual_cndmask_b32 v80, v80, v30, s7
	v_dual_cndmask_b32 v148, v148, v30, s8 :: v_dual_cndmask_b32 v169, v177, v31, s8
	v_fmac_f64_e32 v[162:163], v[32:33], v[214:215]
	s_delay_alu instid0(VALU_DEP_3) | instskip(SKIP_2) | instid1(VALU_DEP_3)
	v_dual_cndmask_b32 v172, v79, v81, s4 :: v_dual_cndmask_b32 v173, v78, v80, s4
	v_dual_cndmask_b32 v68, v68, v30, s9 :: v_dual_cndmask_b32 v69, v69, v31, s9
	v_cmp_eq_u32_e64 s3, 4, v168
	v_dual_cndmask_b32 v32, v172, v169, s5 :: v_dual_cndmask_b32 v33, v173, v148, s5
	v_dual_cndmask_b32 v170, v170, v30 :: v_dual_cndmask_b32 v171, v171, v31
	v_cmp_eq_u32_e64 s7, 5, v168
	s_delay_alu instid0(VALU_DEP_3) | instskip(SKIP_2) | instid1(VALU_DEP_3)
	v_dual_cndmask_b32 v32, v32, v69, s6 :: v_dual_cndmask_b32 v33, v33, v68, s6
	v_fmac_f64_e32 v[60:61], v[58:59], v[208:209]
	v_dual_cndmask_b32 v58, v164, v30, s0 :: v_dual_cndmask_b32 v59, v165, v31, s0
	v_dual_cndmask_b32 v32, v32, v171, s3 :: v_dual_cndmask_b32 v33, v33, v170, s3
	v_cmp_eq_u32_e32 vcc_lo, 6, v168
	v_dual_cndmask_b32 v164, v178, v30, s1 :: v_dual_cndmask_b32 v165, v179, v31, s1
	s_delay_alu instid0(VALU_DEP_3) | instskip(SKIP_2) | instid1(VALU_DEP_3)
	v_dual_cndmask_b32 v32, v32, v59, s7 :: v_dual_cndmask_b32 v33, v33, v58, s7
	v_cmp_eq_u32_e64 s0, 7, v168
	v_dual_cndmask_b32 v166, v166, v30, s2 :: v_dual_cndmask_b32 v167, v167, v31, s2
	v_dual_cndmask_b32 v30, v32, v165, vcc_lo :: v_dual_cndmask_b32 v32, v33, v164, vcc_lo
	v_cmp_eq_u32_e64 s1, 0, v168
	s_delay_alu instid0(VALU_DEP_2) | instskip(SKIP_1) | instid1(VALU_DEP_2)
	v_dual_cndmask_b32 v31, v30, v167, s0 :: v_dual_cndmask_b32 v30, v32, v166, s0
	v_mul_f64_e32 v[32:33], v[146:147], v[202:203]
	v_add_f64_e64 v[30:31], v[30:31], -v[162:163]
	v_ashrrev_i32_e32 v162, 31, v199
	v_fmac_f64_e32 v[60:61], v[66:67], v[212:213]
	s_delay_alu instid0(VALU_DEP_2) | instskip(NEXT) | instid1(VALU_DEP_1)
	v_dual_lshrrev_b32 v66, 29, v162 :: v_dual_cndmask_b32 v81, v81, v31, s4
	v_dual_add_nc_u32 v66, v198, v66 :: v_dual_cndmask_b32 v163, v79, v31, s1
	v_dual_cndmask_b32 v67, v169, v31, s5 :: v_dual_cndmask_b32 v162, v78, v30, s1
	s_delay_alu instid0(VALU_DEP_2) | instskip(SKIP_1) | instid1(VALU_DEP_2)
	v_and_b32_e32 v66, -8, v66
	v_fmac_f64_e32 v[60:61], v[32:33], v[214:215]
	v_sub_nc_u32_e32 v66, v198, v66
	s_delay_alu instid0(VALU_DEP_1) | instskip(SKIP_2) | instid1(VALU_DEP_3)
	v_cmp_eq_u32_e64 s2, 1, v66
	v_cmp_eq_u32_e64 s8, 2, v66
	;; [unrolled: 1-line block ×3, first 2 shown]
	v_dual_cndmask_b32 v69, v69, v31, s6 :: v_dual_cndmask_b32 v78, v163, v81, s2
	s_delay_alu instid0(VALU_DEP_1) | instskip(NEXT) | instid1(VALU_DEP_1)
	v_cndmask_b32_e64 v32, v78, v67, s8
	v_cndmask_b32_e64 v32, v32, v69, s1
	v_cndmask_b32_e64 v80, v80, v30, s4
	v_cndmask_b32_e64 v148, v148, v30, s5
	v_cndmask_b32_e64 v68, v68, v30, s6
	v_cmp_eq_u32_e64 s4, 4, v66
	v_dual_cndmask_b32 v168, v170, v30, s3 :: v_dual_cndmask_b32 v169, v171, v31, s3
	v_cndmask_b32_e64 v79, v162, v80, s2
	v_cmp_eq_u32_e64 s3, 5, v66
	v_dual_cndmask_b32 v58, v58, v30, s7 :: v_dual_cndmask_b32 v59, v59, v31, s7
	v_cmp_eq_u32_e64 s5, 6, v66
	s_delay_alu instid0(VALU_DEP_4) | instskip(SKIP_3) | instid1(VALU_DEP_4)
	v_dual_cndmask_b32 v33, v79, v148, s8 :: v_dual_cndmask_b32 v164, v164, v30, vcc_lo
	v_cndmask_b32_e32 v165, v165, v31, vcc_lo
	v_cmp_eq_u32_e32 vcc_lo, 7, v66
	v_dual_cndmask_b32 v166, v166, v30, s0 :: v_dual_cndmask_b32 v167, v167, v31, s0
	v_dual_cndmask_b32 v33, v33, v68, s1 :: v_dual_cndmask_b32 v32, v32, v169, s4
	v_cmp_eq_u32_e64 s0, 0, v66
	s_delay_alu instid0(VALU_DEP_2) | instskip(NEXT) | instid1(VALU_DEP_1)
	v_dual_cndmask_b32 v33, v33, v168, s4 :: v_dual_cndmask_b32 v32, v32, v59, s3
	v_dual_cndmask_b32 v33, v33, v58, s3 :: v_dual_cndmask_b32 v30, v32, v165, s5
	s_delay_alu instid0(VALU_DEP_1) | instskip(NEXT) | instid1(VALU_DEP_1)
	v_dual_cndmask_b32 v32, v33, v164, s5 :: v_dual_cndmask_b32 v31, v30, v167, vcc_lo
	v_cndmask_b32_e32 v30, v32, v166, vcc_lo
	s_delay_alu instid0(VALU_DEP_1) | instskip(NEXT) | instid1(VALU_DEP_1)
	v_add_f64_e64 v[78:79], v[30:31], -v[60:61]
	v_dual_cndmask_b32 v33, v167, v79 :: v_dual_cndmask_b32 v32, v166, v78
	v_dual_cndmask_b32 v31, v165, v79, s5 :: v_dual_cndmask_b32 v30, v164, v78, s5
	v_dual_cndmask_b32 v61, v59, v79, s3 :: v_dual_cndmask_b32 v60, v58, v78, s3
	;; [unrolled: 1-line block ×7, first 2 shown]
	s_branch .LBB0_11
.LBB0_14:
	s_endpgm
	.section	.rodata,"a",@progbits
	.p2align	6, 0x0
	.amdhsa_kernel _ZN8rajaperf4apps10FEMSweep3DILm64EEEvPdS2_S2_S2_S2_S2_lllPlS3_S3_S3_S3_S3_S3_S3_S3_
		.amdhsa_group_segment_fixed_size 0
		.amdhsa_private_segment_fixed_size 0
		.amdhsa_kernarg_size 144
		.amdhsa_user_sgpr_count 2
		.amdhsa_user_sgpr_dispatch_ptr 0
		.amdhsa_user_sgpr_queue_ptr 0
		.amdhsa_user_sgpr_kernarg_segment_ptr 1
		.amdhsa_user_sgpr_dispatch_id 0
		.amdhsa_user_sgpr_kernarg_preload_length 0
		.amdhsa_user_sgpr_kernarg_preload_offset 0
		.amdhsa_user_sgpr_private_segment_size 0
		.amdhsa_wavefront_size32 1
		.amdhsa_uses_dynamic_stack 0
		.amdhsa_enable_private_segment 0
		.amdhsa_system_sgpr_workgroup_id_x 1
		.amdhsa_system_sgpr_workgroup_id_y 1
		.amdhsa_system_sgpr_workgroup_id_z 0
		.amdhsa_system_sgpr_workgroup_info 0
		.amdhsa_system_vgpr_workitem_id 0
		.amdhsa_next_free_vgpr 230
		.amdhsa_next_free_sgpr 56
		.amdhsa_named_barrier_count 0
		.amdhsa_reserve_vcc 1
		.amdhsa_float_round_mode_32 0
		.amdhsa_float_round_mode_16_64 0
		.amdhsa_float_denorm_mode_32 3
		.amdhsa_float_denorm_mode_16_64 3
		.amdhsa_fp16_overflow 0
		.amdhsa_memory_ordered 1
		.amdhsa_forward_progress 1
		.amdhsa_inst_pref_size 76
		.amdhsa_round_robin_scheduling 0
		.amdhsa_exception_fp_ieee_invalid_op 0
		.amdhsa_exception_fp_denorm_src 0
		.amdhsa_exception_fp_ieee_div_zero 0
		.amdhsa_exception_fp_ieee_overflow 0
		.amdhsa_exception_fp_ieee_underflow 0
		.amdhsa_exception_fp_ieee_inexact 0
		.amdhsa_exception_int_div_zero 0
	.end_amdhsa_kernel
	.section	.text._ZN8rajaperf4apps10FEMSweep3DILm64EEEvPdS2_S2_S2_S2_S2_lllPlS3_S3_S3_S3_S3_S3_S3_S3_,"axG",@progbits,_ZN8rajaperf4apps10FEMSweep3DILm64EEEvPdS2_S2_S2_S2_S2_lllPlS3_S3_S3_S3_S3_S3_S3_S3_,comdat
.Lfunc_end0:
	.size	_ZN8rajaperf4apps10FEMSweep3DILm64EEEvPdS2_S2_S2_S2_S2_lllPlS3_S3_S3_S3_S3_S3_S3_S3_, .Lfunc_end0-_ZN8rajaperf4apps10FEMSweep3DILm64EEEvPdS2_S2_S2_S2_S2_lllPlS3_S3_S3_S3_S3_S3_S3_S3_
                                        ; -- End function
	.set _ZN8rajaperf4apps10FEMSweep3DILm64EEEvPdS2_S2_S2_S2_S2_lllPlS3_S3_S3_S3_S3_S3_S3_S3_.num_vgpr, 230
	.set _ZN8rajaperf4apps10FEMSweep3DILm64EEEvPdS2_S2_S2_S2_S2_lllPlS3_S3_S3_S3_S3_S3_S3_S3_.num_agpr, 0
	.set _ZN8rajaperf4apps10FEMSweep3DILm64EEEvPdS2_S2_S2_S2_S2_lllPlS3_S3_S3_S3_S3_S3_S3_S3_.numbered_sgpr, 56
	.set _ZN8rajaperf4apps10FEMSweep3DILm64EEEvPdS2_S2_S2_S2_S2_lllPlS3_S3_S3_S3_S3_S3_S3_S3_.num_named_barrier, 0
	.set _ZN8rajaperf4apps10FEMSweep3DILm64EEEvPdS2_S2_S2_S2_S2_lllPlS3_S3_S3_S3_S3_S3_S3_S3_.private_seg_size, 0
	.set _ZN8rajaperf4apps10FEMSweep3DILm64EEEvPdS2_S2_S2_S2_S2_lllPlS3_S3_S3_S3_S3_S3_S3_S3_.uses_vcc, 1
	.set _ZN8rajaperf4apps10FEMSweep3DILm64EEEvPdS2_S2_S2_S2_S2_lllPlS3_S3_S3_S3_S3_S3_S3_S3_.uses_flat_scratch, 0
	.set _ZN8rajaperf4apps10FEMSweep3DILm64EEEvPdS2_S2_S2_S2_S2_lllPlS3_S3_S3_S3_S3_S3_S3_S3_.has_dyn_sized_stack, 0
	.set _ZN8rajaperf4apps10FEMSweep3DILm64EEEvPdS2_S2_S2_S2_S2_lllPlS3_S3_S3_S3_S3_S3_S3_S3_.has_recursion, 0
	.set _ZN8rajaperf4apps10FEMSweep3DILm64EEEvPdS2_S2_S2_S2_S2_lllPlS3_S3_S3_S3_S3_S3_S3_S3_.has_indirect_call, 0
	.section	.AMDGPU.csdata,"",@progbits
; Kernel info:
; codeLenInByte = 9628
; TotalNumSgprs: 58
; NumVgprs: 230
; ScratchSize: 0
; MemoryBound: 0
; FloatMode: 240
; IeeeMode: 1
; LDSByteSize: 0 bytes/workgroup (compile time only)
; SGPRBlocks: 0
; VGPRBlocks: 14
; NumSGPRsForWavesPerEU: 58
; NumVGPRsForWavesPerEU: 230
; NamedBarCnt: 0
; Occupancy: 4
; WaveLimiterHint : 1
; COMPUTE_PGM_RSRC2:SCRATCH_EN: 0
; COMPUTE_PGM_RSRC2:USER_SGPR: 2
; COMPUTE_PGM_RSRC2:TRAP_HANDLER: 0
; COMPUTE_PGM_RSRC2:TGID_X_EN: 1
; COMPUTE_PGM_RSRC2:TGID_Y_EN: 1
; COMPUTE_PGM_RSRC2:TGID_Z_EN: 0
; COMPUTE_PGM_RSRC2:TIDIG_COMP_CNT: 0
	.section	.text._ZN4RAJA34launch_new_reduce_global_fcn_fixedIZN8rajaperf4apps8FEMSWEEP17runHipVariantImplILm64EEEvNS1_9VariantIDEEUlNS_14LaunchContextTINS_3hip33LaunchContextIndicesAndDimsPolicyINS7_14IndicesAndDimsILb0ELb0ELb0ELb0EEEEEEEE_Li64ENS_4expt15ForallParamPackIJEEEEEvT_T1_,"axG",@progbits,_ZN4RAJA34launch_new_reduce_global_fcn_fixedIZN8rajaperf4apps8FEMSWEEP17runHipVariantImplILm64EEEvNS1_9VariantIDEEUlNS_14LaunchContextTINS_3hip33LaunchContextIndicesAndDimsPolicyINS7_14IndicesAndDimsILb0ELb0ELb0ELb0EEEEEEEE_Li64ENS_4expt15ForallParamPackIJEEEEEvT_T1_,comdat
	.protected	_ZN4RAJA34launch_new_reduce_global_fcn_fixedIZN8rajaperf4apps8FEMSWEEP17runHipVariantImplILm64EEEvNS1_9VariantIDEEUlNS_14LaunchContextTINS_3hip33LaunchContextIndicesAndDimsPolicyINS7_14IndicesAndDimsILb0ELb0ELb0ELb0EEEEEEEE_Li64ENS_4expt15ForallParamPackIJEEEEEvT_T1_ ; -- Begin function _ZN4RAJA34launch_new_reduce_global_fcn_fixedIZN8rajaperf4apps8FEMSWEEP17runHipVariantImplILm64EEEvNS1_9VariantIDEEUlNS_14LaunchContextTINS_3hip33LaunchContextIndicesAndDimsPolicyINS7_14IndicesAndDimsILb0ELb0ELb0ELb0EEEEEEEE_Li64ENS_4expt15ForallParamPackIJEEEEEvT_T1_
	.globl	_ZN4RAJA34launch_new_reduce_global_fcn_fixedIZN8rajaperf4apps8FEMSWEEP17runHipVariantImplILm64EEEvNS1_9VariantIDEEUlNS_14LaunchContextTINS_3hip33LaunchContextIndicesAndDimsPolicyINS7_14IndicesAndDimsILb0ELb0ELb0ELb0EEEEEEEE_Li64ENS_4expt15ForallParamPackIJEEEEEvT_T1_
	.p2align	8
	.type	_ZN4RAJA34launch_new_reduce_global_fcn_fixedIZN8rajaperf4apps8FEMSWEEP17runHipVariantImplILm64EEEvNS1_9VariantIDEEUlNS_14LaunchContextTINS_3hip33LaunchContextIndicesAndDimsPolicyINS7_14IndicesAndDimsILb0ELb0ELb0ELb0EEEEEEEE_Li64ENS_4expt15ForallParamPackIJEEEEEvT_T1_,@function
_ZN4RAJA34launch_new_reduce_global_fcn_fixedIZN8rajaperf4apps8FEMSWEEP17runHipVariantImplILm64EEEvNS1_9VariantIDEEUlNS_14LaunchContextTINS_3hip33LaunchContextIndicesAndDimsPolicyINS7_14IndicesAndDimsILb0ELb0ELb0ELb0EEEEEEEE_Li64ENS_4expt15ForallParamPackIJEEEEEvT_T1_: ; @_ZN4RAJA34launch_new_reduce_global_fcn_fixedIZN8rajaperf4apps8FEMSWEEP17runHipVariantImplILm64EEEvNS1_9VariantIDEEUlNS_14LaunchContextTINS_3hip33LaunchContextIndicesAndDimsPolicyINS7_14IndicesAndDimsILb0ELb0ELb0ELb0EEEEEEEE_Li64ENS_4expt15ForallParamPackIJEEEEEvT_T1_
; %bb.0:
	s_load_b512 s[36:51], s[0:1], 0x8
	s_bfe_u32 s2, ttmp6, 0x40010
	s_bfe_u32 s3, ttmp6, 0x40004
	s_add_co_i32 s2, s2, 1
	s_getreg_b32 s30, hwreg(HW_REG_IB_STS2, 6, 4)
	s_mul_i32 s2, ttmp7, s2
	s_mov_b32 s5, 0
	s_add_co_i32 s3, s3, s2
	s_cmp_eq_u32 s30, 0
	s_cselect_b32 s4, ttmp7, s3
	s_wait_kmcnt 0x0
	s_mul_u64 s[52:53], s[46:47], s[4:5]
	s_delay_alu instid0(SALU_CYCLE_1) | instskip(NEXT) | instid1(SALU_CYCLE_1)
	s_lshl_b64 s[2:3], s[52:53], 3
	s_add_nc_u64 s[6:7], s[44:45], s[2:3]
	s_load_b64 s[2:3], s[6:7], 0x0
	s_wait_kmcnt 0x0
	s_add_nc_u64 s[2:3], s[2:3], s[52:53]
	s_delay_alu instid0(SALU_CYCLE_1) | instskip(NEXT) | instid1(SALU_CYCLE_1)
	s_lshl_b64 s[2:3], s[2:3], 9
	s_add_nc_u64 s[2:3], s[42:43], s[2:3]
	s_load_b64 s[2:3], s[2:3], 0x0
	s_wait_kmcnt 0x0
	v_cmp_ngt_f64_e64 s8, 0x41d00000, |s[2:3]|
	s_and_b32 vcc_lo, exec_lo, s8
	s_cbranch_vccz .LBB1_2
; %bb.1:
	v_ldexp_f64 v[2:3], |s[2:3]|, 0xffffff80
	v_cmp_le_f64_e64 vcc_lo, 0x7b000000, |s[2:3]|
	v_trig_preop_f64 v[4:5], |s[2:3]|, 0
	s_and_b32 s8, s3, 0x7fffffff
	v_trig_preop_f64 v[6:7], |s[2:3]|, 1
	v_trig_preop_f64 v[16:17], |s[2:3]|, 2
	s_mov_b32 s10, s5
	v_cndmask_b32_e32 v3, s8, v3, vcc_lo
	v_cndmask_b32_e32 v2, s2, v2, vcc_lo
	s_mov_b32 s8, s5
	s_delay_alu instid0(VALU_DEP_1) | instskip(SKIP_1) | instid1(VALU_DEP_2)
	v_mul_f64_e32 v[8:9], v[4:5], v[2:3]
	v_mul_f64_e32 v[10:11], v[6:7], v[2:3]
	v_fma_f64 v[4:5], v[4:5], v[2:3], -v[8:9]
	s_delay_alu instid0(VALU_DEP_1) | instskip(NEXT) | instid1(VALU_DEP_1)
	v_add_f64_e32 v[12:13], v[10:11], v[4:5]
	v_add_f64_e64 v[14:15], v[12:13], -v[10:11]
	v_add_f64_e32 v[20:21], v[8:9], v[12:13]
	v_fma_f64 v[6:7], v[6:7], v[2:3], -v[10:11]
	v_mul_f64_e32 v[22:23], v[16:17], v[2:3]
	s_delay_alu instid0(VALU_DEP_4) | instskip(SKIP_2) | instid1(VALU_DEP_4)
	v_add_f64_e64 v[18:19], v[12:13], -v[14:15]
	v_add_f64_e64 v[4:5], v[4:5], -v[14:15]
	v_ldexp_f64 v[14:15], v[20:21], -2
	v_fma_f64 v[2:3], v[16:17], v[2:3], -v[22:23]
	s_delay_alu instid0(VALU_DEP_4) | instskip(SKIP_1) | instid1(VALU_DEP_4)
	v_add_f64_e64 v[10:11], v[10:11], -v[18:19]
	v_add_f64_e32 v[18:19], v[22:23], v[6:7]
	v_cmp_neq_f64_e64 vcc_lo, 0x7ff00000, |v[14:15]|
	s_delay_alu instid0(VALU_DEP_3) | instskip(SKIP_1) | instid1(VALU_DEP_1)
	v_add_f64_e32 v[4:5], v[4:5], v[10:11]
	v_fract_f64_e32 v[10:11], v[14:15]
	v_ldexp_f64 v[10:11], v[10:11], 2
	s_delay_alu instid0(VALU_DEP_1) | instskip(NEXT) | instid1(VALU_DEP_1)
	v_dual_add_f64 v[8:9], v[20:21], -v[8:9] :: v_dual_cndmask_b32 v11, 0, v11, vcc_lo
	v_dual_add_f64 v[8:9], v[12:13], -v[8:9] :: v_dual_cndmask_b32 v10, 0, v10, vcc_lo
	v_add_f64_e32 v[12:13], v[18:19], v[4:5]
	s_delay_alu instid0(VALU_DEP_1) | instskip(SKIP_1) | instid1(VALU_DEP_2)
	v_add_f64_e32 v[14:15], v[8:9], v[12:13]
	v_add_f64_e64 v[24:25], v[12:13], -v[18:19]
	v_add_f64_e32 v[20:21], v[14:15], v[10:11]
	s_delay_alu instid0(VALU_DEP_2) | instskip(SKIP_2) | instid1(VALU_DEP_4)
	v_add_f64_e64 v[30:31], v[12:13], -v[24:25]
	v_add_f64_e64 v[4:5], v[4:5], -v[24:25]
	;; [unrolled: 1-line block ×3, first 2 shown]
	v_cmp_gt_f64_e32 vcc_lo, 0, v[20:21]
	v_add_f64_e64 v[20:21], v[18:19], -v[22:23]
	s_delay_alu instid0(VALU_DEP_3) | instskip(SKIP_2) | instid1(VALU_DEP_2)
	v_add_f64_e64 v[8:9], v[12:13], -v[8:9]
	s_and_b32 s9, vcc_lo, exec_lo
	s_cselect_b32 s9, 0x40100000, 0
	v_add_f64_e64 v[28:29], v[18:19], -v[20:21]
	v_add_f64_e32 v[10:11], s[8:9], v[10:11]
	v_add_f64_e64 v[6:7], v[6:7], -v[20:21]
	v_add_f64_e64 v[18:19], v[18:19], -v[30:31]
	s_delay_alu instid0(VALU_DEP_4) | instskip(NEXT) | instid1(VALU_DEP_4)
	v_add_f64_e64 v[20:21], v[22:23], -v[28:29]
	v_add_f64_e32 v[26:27], v[14:15], v[10:11]
	s_delay_alu instid0(VALU_DEP_3) | instskip(NEXT) | instid1(VALU_DEP_3)
	v_add_f64_e32 v[4:5], v[4:5], v[18:19]
	v_add_f64_e32 v[6:7], v[6:7], v[20:21]
	s_delay_alu instid0(VALU_DEP_3) | instskip(NEXT) | instid1(VALU_DEP_2)
	v_cvt_i32_f64_e32 v1, v[26:27]
	v_add_f64_e32 v[4:5], v[6:7], v[4:5]
	s_delay_alu instid0(VALU_DEP_2) | instskip(SKIP_1) | instid1(VALU_DEP_3)
	v_cvt_f64_i32_e32 v[24:25], v1
	v_readfirstlane_b32 s8, v1
	v_add_f64_e32 v[2:3], v[2:3], v[4:5]
	s_delay_alu instid0(VALU_DEP_3) | instskip(NEXT) | instid1(VALU_DEP_2)
	v_add_f64_e64 v[10:11], v[10:11], -v[24:25]
	v_add_f64_e32 v[2:3], v[8:9], v[2:3]
	s_delay_alu instid0(VALU_DEP_2) | instskip(NEXT) | instid1(VALU_DEP_1)
	v_add_f64_e32 v[6:7], v[14:15], v[10:11]
	v_add_f64_e64 v[4:5], v[6:7], -v[10:11]
	v_cmp_le_f64_e32 vcc_lo, 0.5, v[6:7]
	s_delay_alu instid0(VALU_DEP_2)
	v_add_f64_e64 v[4:5], v[14:15], -v[4:5]
	s_cmp_lg_u32 vcc_lo, 0
	s_add_co_ci_u32 s8, s8, 0
	s_and_b32 s9, vcc_lo, exec_lo
	s_cselect_b32 s11, 0x3ff00000, 0
	s_mov_b32 s9, s5
	s_delay_alu instid0(VALU_DEP_1) | instskip(SKIP_2) | instid1(VALU_DEP_1)
	v_add_f64_e32 v[2:3], v[2:3], v[4:5]
	v_add_f64_e64 v[4:5], v[6:7], -s[10:11]
	s_mov_b64 s[10:11], 0x3ff921fb54442d18
	v_add_f64_e32 v[6:7], v[4:5], v[2:3]
	s_delay_alu instid0(VALU_DEP_1) | instskip(SKIP_1) | instid1(VALU_DEP_2)
	v_mul_f64_e32 v[8:9], 0x3ff921fb54442d18, v[6:7]
	v_add_f64_e64 v[4:5], v[6:7], -v[4:5]
	v_fma_f64 v[10:11], v[6:7], s[10:11], -v[8:9]
	s_delay_alu instid0(VALU_DEP_2) | instskip(NEXT) | instid1(VALU_DEP_2)
	v_add_f64_e64 v[2:3], v[2:3], -v[4:5]
	v_fmamk_f64 v[4:5], v[6:7], 0x3c91a62633145c07, v[10:11]
	s_delay_alu instid0(VALU_DEP_1) | instskip(NEXT) | instid1(VALU_DEP_1)
	v_fmac_f64_e32 v[4:5], 0x3ff921fb54442d18, v[2:3]
	v_add_f64_e32 v[2:3], v[8:9], v[4:5]
	s_delay_alu instid0(VALU_DEP_1) | instskip(NEXT) | instid1(VALU_DEP_1)
	v_add_f64_e64 v[6:7], v[2:3], -v[8:9]
	v_add_f64_e64 v[4:5], v[4:5], -v[6:7]
	s_load_b64 s[28:29], s[38:39], s4 offset:0x0 scale_offset
	s_and_not1_b32 vcc_lo, exec_lo, s9
	s_cbranch_vccz .LBB1_3
	s_branch .LBB1_4
.LBB1_2:
                                        ; implicit-def: $sgpr8
                                        ; implicit-def: $vgpr2_vgpr3
                                        ; implicit-def: $vgpr4_vgpr5
	s_load_b64 s[28:29], s[38:39], s4 offset:0x0 scale_offset
.LBB1_3:
	s_mov_b64 s[8:9], 0x3fe45f306dc9c883
	s_delay_alu instid0(SALU_CYCLE_1) | instskip(SKIP_1) | instid1(VALU_DEP_1)
	v_mul_f64_e64 v[2:3], |s[2:3]|, s[8:9]
	s_mov_b64 s[8:9], 0xbff921fb54442d18
	v_rndne_f64_e32 v[4:5], v[2:3]
	s_delay_alu instid0(VALU_DEP_1) | instskip(SKIP_2) | instid1(VALU_DEP_3)
	v_fma_f64 v[2:3], v[4:5], s[8:9], |s[2:3]|
	v_mul_f64_e32 v[6:7], 0xbc91a62633145c00, v[4:5]
	v_cvt_i32_f64_e32 v1, v[4:5]
	v_fmamk_f64 v[12:13], v[4:5], 0xbc91a62633145c00, v[2:3]
	s_delay_alu instid0(VALU_DEP_3) | instskip(NEXT) | instid1(VALU_DEP_3)
	v_add_f64_e32 v[8:9], v[2:3], v[6:7]
	v_readfirstlane_b32 s8, v1
	s_delay_alu instid0(VALU_DEP_2) | instskip(NEXT) | instid1(VALU_DEP_4)
	v_add_f64_e64 v[10:11], v[2:3], -v[8:9]
	v_add_f64_e64 v[8:9], v[8:9], -v[12:13]
	s_delay_alu instid0(VALU_DEP_2) | instskip(SKIP_1) | instid1(VALU_DEP_2)
	v_add_f64_e32 v[2:3], v[10:11], v[6:7]
	v_fmamk_f64 v[6:7], v[4:5], 0x3c91a62633145c00, v[6:7]
	v_add_f64_e32 v[2:3], v[8:9], v[2:3]
	s_delay_alu instid0(VALU_DEP_1) | instskip(NEXT) | instid1(VALU_DEP_1)
	v_add_f64_e64 v[2:3], v[2:3], -v[6:7]
	v_fmamk_f64 v[6:7], v[4:5], 0xb97b839a252049c0, v[2:3]
	s_delay_alu instid0(VALU_DEP_1) | instskip(NEXT) | instid1(VALU_DEP_1)
	v_add_f64_e32 v[2:3], v[12:13], v[6:7]
	v_add_f64_e64 v[8:9], v[2:3], -v[12:13]
	s_delay_alu instid0(VALU_DEP_1)
	v_add_f64_e64 v[4:5], v[6:7], -v[8:9]
.LBB1_4:
	s_wait_kmcnt 0x0
	v_cmp_lt_i64_e64 s9, s[28:29], 1
	s_and_b32 vcc_lo, exec_lo, s9
	s_cbranch_vccnz .LBB1_22
; %bb.5:
	v_cmp_class_f64_e64 s2, s[2:3], 0x1f8
	v_mul_f64_e32 v[6:7], v[2:3], v[2:3]
	s_bitcmp0_b32 s8, 0
	s_mov_b64 s[10:11], 0x3de5e0b2f9a43bb8
	s_cselect_b32 vcc_lo, -1, 0
	v_mul_f64_e32 v[14:15], 0.5, v[4:5]
	s_lshl_b32 s8, s8, 30
	s_and_b32 s31, ttmp6, 15
	s_xor_b32 s3, s8, s3
	s_mul_u64 s[44:45], s[36:37], s[52:53]
	s_and_b32 s3, s3, 0x80000000
	v_dual_mov_b32 v149, 0 :: v_dual_lshlrev_b32 v148, 3, v0
	s_delay_alu instid0(VALU_DEP_1) | instskip(NEXT) | instid1(VALU_DEP_4)
	v_add_nc_u64_e32 v[150:151], s[6:7], v[148:149]
	v_mul_f64_e32 v[8:9], 0.5, v[6:7]
	v_mul_f64_e64 v[16:17], v[2:3], -v[6:7]
	v_fmaak_f64 v[18:19], s[10:11], v[6:7], 0xbe5ae600b42fdfa7
	s_mov_b64 s[10:11], 0xbda907db46cc5e42
	s_delay_alu instid0(VALU_DEP_3) | instskip(NEXT) | instid1(VALU_DEP_1)
	v_add_f64_e64 v[10:11], -v[8:9], 1.0
	v_add_f64_e64 v[12:13], -v[10:11], 1.0
	s_delay_alu instid0(VALU_DEP_1) | instskip(NEXT) | instid1(VALU_DEP_4)
	v_add_f64_e64 v[8:9], v[12:13], -v[8:9]
	v_fmaak_f64 v[12:13], v[6:7], v[18:19], 0x3ec71de3796cde01
	v_mul_f64_e32 v[18:19], v[6:7], v[6:7]
	s_delay_alu instid0(VALU_DEP_2) | instskip(NEXT) | instid1(VALU_DEP_1)
	v_fmaak_f64 v[12:13], v[6:7], v[12:13], 0xbf2a01a019e83e5c
	v_fmaak_f64 v[12:13], v[6:7], v[12:13], 0x3f81111111110bb3
	s_delay_alu instid0(VALU_DEP_1) | instskip(SKIP_1) | instid1(VALU_DEP_1)
	v_fmac_f64_e32 v[14:15], v[16:17], v[12:13]
	v_fmaak_f64 v[12:13], s[10:11], v[6:7], 0x3e21eeb69037ab78
	v_fmaak_f64 v[12:13], v[6:7], v[12:13], 0xbe927e4fa17f65f6
	v_fma_f64 v[8:9], v[2:3], -v[4:5], v[8:9]
	s_delay_alu instid0(VALU_DEP_2) | instskip(NEXT) | instid1(VALU_DEP_1)
	v_fmaak_f64 v[12:13], v[6:7], v[12:13], 0x3efa01a019f4ec90
	v_fmaak_f64 v[12:13], v[6:7], v[12:13], 0xbf56c16c16c16967
	v_fma_f64 v[4:5], v[6:7], v[14:15], -v[4:5]
	s_delay_alu instid0(VALU_DEP_2) | instskip(NEXT) | instid1(VALU_DEP_1)
	v_fmaak_f64 v[6:7], v[6:7], v[12:13], 0x3fa5555555555555
	v_fmac_f64_e32 v[8:9], v[18:19], v[6:7]
	s_delay_alu instid0(VALU_DEP_3) | instskip(NEXT) | instid1(VALU_DEP_1)
	v_fmamk_f64 v[4:5], v[16:17], 0xbfc5555555555555, v[4:5]
	v_add_f64_e64 v[2:3], v[2:3], -v[4:5]
	s_delay_alu instid0(VALU_DEP_3) | instskip(NEXT) | instid1(VALU_DEP_1)
	v_add_f64_e32 v[4:5], v[10:11], v[8:9]
	v_dual_cndmask_b32 v1, v4, v2 :: v_dual_cndmask_b32 v2, v5, v3
	s_delay_alu instid0(VALU_DEP_1) | instskip(SKIP_1) | instid1(VALU_DEP_2)
	v_dual_cndmask_b32 v2, 0, v1, s2 :: v_dual_bitop2_b32 v3, s3, v2 bitop3:0x14
	v_mov_b32_e32 v1, v149
	v_cndmask_b32_e64 v3, 0x7ff80000, v3, s2
	s_load_b64 s[2:3], s[40:41], s4 offset:0x0 scale_offset
	s_clause 0x1
	s_load_b512 s[12:27], s[0:1], 0x48
	s_load_b128 s[8:11], s[0:1], 0x88
	s_wait_xcnt 0x0
	s_bfe_u32 s0, ttmp6, 0x4000c
	s_mov_b32 s1, 0
	s_add_co_i32 s0, s0, 1
	v_add_f64_e32 v[2:3], -2.0, v[2:3]
	s_mul_i32 s0, ttmp9, s0
	s_mul_u64 s[40:41], s[52:53], 48
	s_add_co_i32 s0, s31, s0
	s_cmp_eq_u32 s30, 0
	s_mov_b64 s[30:31], 0
	s_cselect_b32 s0, ttmp9, s0
	s_delay_alu instid0(SALU_CYCLE_1)
	s_mul_u64 s[0:1], s[46:47], s[0:1]
	s_wait_kmcnt 0x0
	s_lshl_b64 s[2:3], s[2:3], 3
	s_add_nc_u64 s[18:19], s[18:19], s[40:41]
	s_add_nc_u64 s[34:35], s[48:49], s[2:3]
	s_lshl_b64 s[2:3], s[52:53], 6
	s_mul_u64 s[4:5], s[4:5], s[24:25]
	s_add_nc_u64 s[36:37], s[50:51], s[2:3]
	s_lshl_b64 s[2:3], s[52:53], 9
	s_delay_alu instid0(SALU_CYCLE_1)
	s_add_nc_u64 s[38:39], s[42:43], s[2:3]
	s_lshl_b64 s[2:3], s[0:1], 3
	s_lshl_b64 s[0:1], s[0:1], 6
	s_add_nc_u64 s[40:41], s[8:9], s[2:3]
	s_add_nc_u64 s[0:1], s[26:27], s[0:1]
	s_lshl_b64 s[2:3], s[44:45], 6
	s_lshl_b64 s[26:27], s[4:5], 8
	s_add_nc_u64 s[24:25], s[0:1], s[2:3]
	s_mov_b64 s[42:43], 0
	s_delay_alu instid0(VALU_DEP_1)
	v_max_num_f64_e32 v[146:147], 0, v[2:3]
	s_branch .LBB1_7
.LBB1_6:                                ;   in Loop: Header=BB1_7 Depth=1
	s_or_b32 exec_lo, exec_lo, s33
	s_add_nc_u64 s[30:31], s[30:31], 1
	s_add_nc_u64 s[42:43], s[44:45], s[42:43]
	s_cmp_lg_u64 s[30:31], s[28:29]
	s_wait_storecnt 0x0
	s_barrier_signal -1
	s_barrier_wait -1
	s_cbranch_scc0 .LBB1_22
.LBB1_7:                                ; =>This Loop Header: Depth=1
                                        ;     Child Loop BB1_10 Depth 2
	s_lshl_b64 s[0:1], s[30:31], 3
	s_mov_b32 s33, exec_lo
	s_add_nc_u64 s[0:1], s[34:35], s[0:1]
	s_load_b64 s[44:45], s[0:1], 0x0
	s_wait_kmcnt 0x0
	v_cmpx_gt_i64_e64 s[44:45], v[0:1]
	s_cbranch_execz .LBB1_6
; %bb.8:                                ;   in Loop: Header=BB1_7 Depth=1
	v_mov_b64_e32 v[154:155], v[0:1]
	v_lshl_add_u64 v[152:153], s[42:43], 3, v[150:151]
	s_mov_b32 s46, 0
	s_branch .LBB1_10
.LBB1_9:                                ;   in Loop: Header=BB1_10 Depth=2
	s_wait_xcnt 0x0
	s_or_b32 exec_lo, exec_lo, s7
	v_add_nc_u64_e32 v[160:161], s[10:11], v[160:161]
	v_lshl_add_u64 v[178:179], v[158:159], 3, s[40:41]
	v_add_nc_u64_e32 v[154:155], 64, v[154:155]
	v_add_nc_u64_e32 v[152:153], 0x200, v[152:153]
	global_load_b64 v[158:159], v[178:179], off
	s_clause 0x3
	global_load_b128 v[162:165], v[160:161], off
	global_load_b128 v[166:169], v[160:161], off offset:16
	global_load_b128 v[170:173], v[160:161], off offset:32
	global_load_b128 v[174:177], v[160:161], off offset:48
	s_wait_loadcnt 0x3
	v_fmac_f64_e32 v[38:39], v[158:159], v[162:163]
	v_fmac_f64_e32 v[40:41], v[158:159], v[164:165]
	s_wait_loadcnt 0x2
	v_fmac_f64_e32 v[134:135], v[158:159], v[166:167]
	v_fmac_f64_e32 v[136:137], v[158:159], v[168:169]
	s_wait_loadcnt 0x1
	v_fmac_f64_e32 v[130:131], v[158:159], v[170:171]
	s_clause 0x1
	global_load_b128 v[164:167], v[160:161], off offset:64
	global_load_b128 v[168:171], v[160:161], off offset:80
	v_fmac_f64_e32 v[132:133], v[158:159], v[172:173]
	s_wait_loadcnt 0x2
	v_fmac_f64_e32 v[126:127], v[158:159], v[174:175]
	v_fmac_f64_e32 v[128:129], v[158:159], v[176:177]
	s_clause 0x1
	global_load_b128 v[172:175], v[160:161], off offset:96
	global_load_b128 v[176:179], v[160:161], off offset:112
	v_div_scale_f64 v[162:163], null, v[38:39], v[38:39], v[40:41]
	v_div_scale_f64 v[180:181], null, v[38:39], v[38:39], v[134:135]
	;; [unrolled: 1-line block ×7, first 2 shown]
	v_div_scale_f64 v[220:221], vcc_lo, v[40:41], v[38:39], v[40:41]
	v_rcp_f64_e32 v[192:193], v[162:163]
	v_rcp_f64_e32 v[194:195], v[180:181]
	;; [unrolled: 1-line block ×4, first 2 shown]
	s_delay_alu instid0(VALU_DEP_4) | instskip(NEXT) | instid1(VALU_DEP_3)
	v_rcp_f64_e32 v[200:201], v[186:187]
	v_rcp_f64_e32 v[202:203], v[188:189]
	s_delay_alu instid0(VALU_DEP_2) | instskip(SKIP_4) | instid1(TRANS32_DEP_3)
	v_rcp_f64_e32 v[204:205], v[190:191]
	v_fma_f64 v[206:207], -v[162:163], v[192:193], 1.0
	v_fma_f64 v[208:209], -v[180:181], v[194:195], 1.0
	;; [unrolled: 1-line block ×5, first 2 shown]
	s_delay_alu instid0(TRANS32_DEP_2) | instskip(NEXT) | instid1(TRANS32_DEP_1)
	v_fma_f64 v[216:217], -v[188:189], v[202:203], 1.0
	v_fma_f64 v[218:219], -v[190:191], v[204:205], 1.0
	v_fmac_f64_e32 v[192:193], v[192:193], v[206:207]
	v_fmac_f64_e32 v[194:195], v[194:195], v[208:209]
	;; [unrolled: 1-line block ×7, first 2 shown]
	v_fma_f64 v[206:207], -v[162:163], v[192:193], 1.0
	v_fma_f64 v[208:209], -v[180:181], v[194:195], 1.0
	v_fma_f64 v[210:211], -v[182:183], v[196:197], 1.0
	v_fma_f64 v[212:213], -v[184:185], v[198:199], 1.0
	v_fma_f64 v[214:215], -v[186:187], v[200:201], 1.0
	v_fma_f64 v[216:217], -v[188:189], v[202:203], 1.0
	v_fma_f64 v[218:219], -v[190:191], v[204:205], 1.0
	v_fmac_f64_e32 v[192:193], v[192:193], v[206:207]
	v_div_scale_f64 v[206:207], s0, v[134:135], v[38:39], v[134:135]
	v_fmac_f64_e32 v[194:195], v[194:195], v[208:209]
	v_div_scale_f64 v[208:209], s1, v[136:137], v[38:39], v[136:137]
	;; [unrolled: 2-line block ×6, first 2 shown]
	v_fmac_f64_e32 v[204:205], v[204:205], v[218:219]
	v_mul_f64_e32 v[218:219], v[220:221], v[192:193]
	v_mul_f64_e32 v[222:223], v[206:207], v[194:195]
	;; [unrolled: 1-line block ×7, first 2 shown]
	v_fma_f64 v[162:163], -v[162:163], v[218:219], v[220:221]
	v_fma_f64 v[180:181], -v[180:181], v[222:223], v[206:207]
	;; [unrolled: 1-line block ×7, first 2 shown]
	v_div_fmas_f64 v[162:163], v[162:163], v[192:193], v[218:219]
	s_mov_b32 vcc_lo, s0
	v_div_fmas_f64 v[180:181], v[180:181], v[194:195], v[222:223]
	s_mov_b32 vcc_lo, s1
	;; [unrolled: 2-line block ×6, first 2 shown]
	v_div_fmas_f64 v[190:191], v[190:191], v[204:205], v[232:233]
	s_wait_loadcnt 0x3
	v_fmac_f64_e32 v[42:43], v[158:159], v[164:165]
	v_fmac_f64_e32 v[44:45], v[158:159], v[166:167]
	v_div_fixup_f64 v[164:165], v[162:163], v[38:39], v[40:41]
	s_wait_loadcnt 0x2
	v_fmac_f64_e32 v[122:123], v[158:159], v[168:169]
	v_fmac_f64_e32 v[124:125], v[158:159], v[170:171]
	v_div_fixup_f64 v[162:163], v[180:181], v[38:39], v[134:135]
	global_load_b128 v[180:183], v[160:161], off offset:128
	s_wait_loadcnt 0x2
	v_fmac_f64_e32 v[118:119], v[158:159], v[172:173]
	v_div_fixup_f64 v[136:137], v[192:193], v[38:39], v[136:137]
	v_fmac_f64_e32 v[120:121], v[158:159], v[174:175]
	s_wait_loadcnt 0x1
	v_fmac_f64_e32 v[110:111], v[158:159], v[176:177]
	v_div_fixup_f64 v[134:135], v[184:185], v[38:39], v[130:131]
	v_fmac_f64_e32 v[112:113], v[158:159], v[178:179]
	v_div_fixup_f64 v[130:131], v[186:187], v[38:39], v[132:133]
	v_div_fixup_f64 v[126:127], v[188:189], v[38:39], v[126:127]
	;; [unrolled: 1-line block ×3, first 2 shown]
	v_fma_f64 v[128:129], v[164:165], v[42:43], 0
	v_fma_f64 v[132:133], v[162:163], v[42:43], 0
	;; [unrolled: 1-line block ×7, first 2 shown]
	v_add_f64_e64 v[128:129], v[44:45], -v[128:129]
	v_add_f64_e64 v[44:45], v[122:123], -v[132:133]
	;; [unrolled: 1-line block ×3, first 2 shown]
	global_load_b128 v[122:125], v[160:161], off offset:160
	v_add_f64_e64 v[176:177], v[118:119], -v[168:169]
	global_load_b128 v[166:169], v[160:161], off offset:176
	v_add_f64_e64 v[178:179], v[120:121], -v[170:171]
	;; [unrolled: 2-line block ×3, first 2 shown]
	v_add_f64_e64 v[174:175], v[112:113], -v[174:175]
	v_div_scale_f64 v[110:111], null, v[128:129], v[128:129], v[44:45]
	v_div_scale_f64 v[214:215], vcc_lo, v[44:45], v[128:129], v[44:45]
	v_div_scale_f64 v[112:113], null, v[128:129], v[128:129], v[132:133]
	v_div_scale_f64 v[186:187], null, v[128:129], v[128:129], v[176:177]
	v_div_scale_f64 v[216:217], s1, v[176:177], v[128:129], v[176:177]
	v_div_scale_f64 v[188:189], null, v[128:129], v[128:129], v[178:179]
	v_div_scale_f64 v[190:191], null, v[128:129], v[128:129], v[184:185]
	;; [unrolled: 1-line block ×3, first 2 shown]
	v_rcp_f64_e32 v[194:195], v[110:111]
	v_rcp_f64_e32 v[196:197], v[112:113]
	;; [unrolled: 1-line block ×3, first 2 shown]
	s_delay_alu instid0(VALU_DEP_3) | instskip(NEXT) | instid1(VALU_DEP_2)
	v_rcp_f64_e32 v[200:201], v[188:189]
	v_rcp_f64_e32 v[202:203], v[190:191]
	s_delay_alu instid0(VALU_DEP_1) | instskip(SKIP_3) | instid1(TRANS32_DEP_3)
	v_rcp_f64_e32 v[204:205], v[192:193]
	v_fma_f64 v[170:171], -v[110:111], v[194:195], 1.0
	v_fma_f64 v[172:173], -v[112:113], v[196:197], 1.0
	;; [unrolled: 1-line block ×4, first 2 shown]
	s_delay_alu instid0(TRANS32_DEP_2) | instskip(NEXT) | instid1(TRANS32_DEP_1)
	v_fma_f64 v[210:211], -v[190:191], v[202:203], 1.0
	v_fma_f64 v[212:213], -v[192:193], v[204:205], 1.0
	v_fmac_f64_e32 v[194:195], v[194:195], v[170:171]
	v_fmac_f64_e32 v[196:197], v[196:197], v[172:173]
	;; [unrolled: 1-line block ×6, first 2 shown]
	v_fma_f64 v[170:171], -v[110:111], v[194:195], 1.0
	v_fma_f64 v[172:173], -v[112:113], v[196:197], 1.0
	;; [unrolled: 1-line block ×6, first 2 shown]
	v_fmac_f64_e32 v[194:195], v[194:195], v[170:171]
	v_div_scale_f64 v[170:171], s0, v[132:133], v[128:129], v[132:133]
	v_fmac_f64_e32 v[196:197], v[196:197], v[172:173]
	v_fmac_f64_e32 v[198:199], v[198:199], v[206:207]
	v_div_scale_f64 v[206:207], s2, v[178:179], v[128:129], v[178:179]
	v_fmac_f64_e32 v[200:201], v[200:201], v[208:209]
	v_div_scale_f64 v[208:209], s3, v[184:185], v[128:129], v[184:185]
	;; [unrolled: 2-line block ×3, first 2 shown]
	v_fmac_f64_e32 v[204:205], v[204:205], v[212:213]
	v_mul_f64_e32 v[212:213], v[214:215], v[194:195]
	v_mul_f64_e32 v[218:219], v[170:171], v[196:197]
	v_mul_f64_e32 v[220:221], v[216:217], v[198:199]
	v_mul_f64_e32 v[222:223], v[206:207], v[200:201]
	v_mul_f64_e32 v[224:225], v[208:209], v[202:203]
	v_mul_f64_e32 v[226:227], v[210:211], v[204:205]
	s_wait_loadcnt 0x3
	v_fmac_f64_e32 v[34:35], v[158:159], v[180:181]
	v_fmac_f64_e32 v[36:37], v[158:159], v[182:183]
	v_fma_f64 v[110:111], -v[110:111], v[212:213], v[214:215]
	v_fma_f64 v[112:113], -v[112:113], v[218:219], v[170:171]
	global_load_b128 v[170:173], v[160:161], off offset:192
	v_fma_f64 v[180:181], -v[186:187], v[220:221], v[216:217]
	v_fma_f64 v[186:187], -v[188:189], v[222:223], v[206:207]
	;; [unrolled: 1-line block ×4, first 2 shown]
	v_fma_f64 v[182:183], v[164:165], v[34:35], 0
	v_fma_f64 v[192:193], v[162:163], v[34:35], 0
	v_div_fmas_f64 v[110:111], v[110:111], v[194:195], v[212:213]
	s_mov_b32 vcc_lo, s0
	v_fma_f64 v[194:195], v[136:137], v[34:35], 0
	v_div_fmas_f64 v[112:113], v[112:113], v[196:197], v[218:219]
	s_mov_b32 vcc_lo, s1
	v_div_fmas_f64 v[180:181], v[180:181], v[198:199], v[220:221]
	s_mov_b32 vcc_lo, s2
	;; [unrolled: 2-line block ×4, first 2 shown]
	v_div_fmas_f64 v[190:191], v[190:191], v[204:205], v[226:227]
	v_add_f64_e64 v[182:183], v[36:37], -v[182:183]
	s_wait_loadcnt 0x3
	v_fmac_f64_e32 v[102:103], v[158:159], v[122:123]
	v_fmac_f64_e32 v[104:105], v[158:159], v[124:125]
	v_div_fixup_f64 v[44:45], v[110:111], v[128:129], v[44:45]
	s_wait_loadcnt 0x2
	v_fmac_f64_e32 v[98:99], v[158:159], v[166:167]
	v_fmac_f64_e32 v[100:101], v[158:159], v[168:169]
	v_div_fixup_f64 v[36:37], v[112:113], v[128:129], v[132:133]
	v_fma_f64 v[132:133], v[134:135], v[34:35], 0
	s_wait_loadcnt 0x1
	v_fmac_f64_e32 v[106:107], v[158:159], v[118:119]
	v_div_fixup_f64 v[110:111], v[180:181], v[128:129], v[176:177]
	v_fma_f64 v[180:181], v[130:131], v[34:35], 0
	v_fmac_f64_e32 v[108:109], v[158:159], v[120:121]
	v_div_fixup_f64 v[112:113], v[186:187], v[128:129], v[178:179]
	v_fma_f64 v[178:179], v[126:127], v[34:35], 0
	v_fma_f64 v[186:187], v[40:41], v[34:35], 0
	v_div_fixup_f64 v[184:185], v[188:189], v[128:129], v[184:185]
	v_div_fixup_f64 v[188:189], v[190:191], v[128:129], v[174:175]
	global_load_b128 v[174:177], v[160:161], off offset:208
	v_fmac_f64_e32 v[192:193], v[44:45], v[182:183]
	v_fmac_f64_e32 v[194:195], v[36:37], v[182:183]
	;; [unrolled: 1-line block ×6, first 2 shown]
	v_add_f64_e64 v[122:123], v[106:107], -v[192:193]
	v_add_f64_e64 v[124:125], v[108:109], -v[194:195]
	;; [unrolled: 1-line block ×4, first 2 shown]
	global_load_b128 v[102:105], v[160:161], off offset:240
	v_add_f64_e64 v[168:169], v[98:99], -v[178:179]
	v_add_f64_e64 v[178:179], v[100:101], -v[186:187]
	global_load_b128 v[98:101], v[160:161], off offset:224
	v_div_scale_f64 v[118:119], null, v[122:123], v[122:123], v[124:125]
	v_div_scale_f64 v[120:121], null, v[122:123], v[122:123], v[132:133]
	v_div_scale_f64 v[180:181], null, v[122:123], v[122:123], v[166:167]
	v_div_scale_f64 v[186:187], null, v[122:123], v[122:123], v[168:169]
	v_div_scale_f64 v[190:191], null, v[122:123], v[122:123], v[178:179]
	v_rcp_f64_e32 v[192:193], v[118:119]
	s_delay_alu instid0(VALU_DEP_4) | instskip(NEXT) | instid1(VALU_DEP_3)
	v_rcp_f64_e32 v[194:195], v[120:121]
	v_rcp_f64_e32 v[196:197], v[180:181]
	s_delay_alu instid0(VALU_DEP_2) | instskip(NEXT) | instid1(VALU_DEP_1)
	v_rcp_f64_e32 v[198:199], v[186:187]
	v_rcp_f64_e32 v[200:201], v[190:191]
	v_fma_f64 v[106:107], -v[118:119], v[192:193], 1.0
	v_fma_f64 v[108:109], -v[120:121], v[194:195], 1.0
	s_delay_alu instid0(TRANS32_DEP_3) | instskip(NEXT) | instid1(TRANS32_DEP_2)
	v_fma_f64 v[202:203], -v[180:181], v[196:197], 1.0
	v_fma_f64 v[204:205], -v[186:187], v[198:199], 1.0
	s_delay_alu instid0(TRANS32_DEP_1)
	v_fma_f64 v[206:207], -v[190:191], v[200:201], 1.0
	v_fmac_f64_e32 v[192:193], v[192:193], v[106:107]
	v_fmac_f64_e32 v[194:195], v[194:195], v[108:109]
	global_load_b128 v[106:109], v[160:161], off offset:256
	v_fmac_f64_e32 v[196:197], v[196:197], v[202:203]
	v_fmac_f64_e32 v[198:199], v[198:199], v[204:205]
	;; [unrolled: 1-line block ×3, first 2 shown]
	v_fma_f64 v[202:203], -v[118:119], v[192:193], 1.0
	v_fma_f64 v[204:205], -v[120:121], v[194:195], 1.0
	;; [unrolled: 1-line block ×5, first 2 shown]
	s_wait_loadcnt 0x4
	v_fmac_f64_e32 v[30:31], v[158:159], v[170:171]
	v_div_scale_f64 v[170:171], vcc_lo, v[124:125], v[122:123], v[124:125]
	v_fmac_f64_e32 v[32:33], v[158:159], v[172:173]
	v_fmac_f64_e32 v[192:193], v[192:193], v[202:203]
	v_div_scale_f64 v[202:203], s0, v[132:133], v[122:123], v[132:133]
	v_fmac_f64_e32 v[194:195], v[194:195], v[204:205]
	v_div_scale_f64 v[204:205], s1, v[166:167], v[122:123], v[166:167]
	;; [unrolled: 2-line block ×4, first 2 shown]
	v_fmac_f64_e32 v[200:201], v[200:201], v[210:211]
	v_fma_f64 v[172:173], v[164:165], v[30:31], 0
	v_fma_f64 v[220:221], v[162:163], v[30:31], 0
	v_mul_f64_e32 v[210:211], v[170:171], v[192:193]
	v_mul_f64_e32 v[212:213], v[202:203], v[194:195]
	;; [unrolled: 1-line block ×5, first 2 shown]
	v_add_f64_e64 v[32:33], v[32:33], -v[172:173]
	v_fma_f64 v[170:171], -v[118:119], v[210:211], v[170:171]
	v_fma_f64 v[172:173], -v[120:121], v[212:213], v[202:203]
	v_fma_f64 v[202:203], v[134:135], v[30:31], 0
	global_load_b128 v[118:121], v[160:161], off offset:272
	v_fma_f64 v[180:181], -v[180:181], v[214:215], v[204:205]
	s_wait_loadcnt 0x4
	v_fmac_f64_e32 v[90:91], v[158:159], v[174:175]
	v_fma_f64 v[174:175], v[136:137], v[30:31], 0
	v_fma_f64 v[186:187], -v[186:187], v[216:217], v[206:207]
	v_fma_f64 v[204:205], v[130:131], v[30:31], 0
	v_fma_f64 v[206:207], v[126:127], v[30:31], 0
	v_fma_f64 v[190:191], -v[190:191], v[218:219], v[208:209]
	v_fma_f64 v[208:209], v[40:41], v[30:31], 0
	v_fmac_f64_e32 v[92:93], v[158:159], v[176:177]
	v_fmac_f64_e32 v[220:221], v[44:45], v[32:33]
	v_div_fmas_f64 v[170:171], v[170:171], v[192:193], v[210:211]
	s_mov_b32 vcc_lo, s0
	v_div_fmas_f64 v[172:173], v[172:173], v[194:195], v[212:213]
	s_mov_b32 vcc_lo, s1
	v_fmac_f64_e32 v[202:203], v[110:111], v[32:33]
	v_div_fmas_f64 v[180:181], v[180:181], v[196:197], v[214:215]
	s_mov_b32 vcc_lo, s2
	v_fmac_f64_e32 v[174:175], v[36:37], v[32:33]
	;; [unrolled: 3-line block ×3, first 2 shown]
	v_div_fmas_f64 v[190:191], v[190:191], v[200:201], v[218:219]
	v_fmac_f64_e32 v[206:207], v[184:185], v[32:33]
	v_fmac_f64_e32 v[208:209], v[188:189], v[32:33]
	v_add_f64_e64 v[192:193], v[90:91], -v[220:221]
	v_div_fixup_f64 v[124:125], v[170:171], v[122:123], v[124:125]
	s_wait_loadcnt 0x3
	v_fmac_f64_e32 v[82:83], v[158:159], v[102:103]
	v_fmac_f64_e32 v[84:85], v[158:159], v[104:105]
	v_div_fixup_f64 v[132:133], v[172:173], v[122:123], v[132:133]
	v_div_fixup_f64 v[166:167], v[180:181], v[122:123], v[166:167]
	s_wait_loadcnt 0x2
	v_fmac_f64_e32 v[86:87], v[158:159], v[98:99]
	v_fmac_f64_e32 v[88:89], v[158:159], v[100:101]
	v_div_fixup_f64 v[168:169], v[186:187], v[122:123], v[168:169]
	v_div_fixup_f64 v[170:171], v[190:191], v[122:123], v[178:179]
	v_fmac_f64_e32 v[174:175], v[124:125], v[192:193]
	v_fmac_f64_e32 v[202:203], v[132:133], v[192:193]
	;; [unrolled: 1-line block ×5, first 2 shown]
	v_add_f64_e64 v[102:103], v[92:93], -v[174:175]
	v_add_f64_e64 v[104:105], v[86:87], -v[202:203]
	;; [unrolled: 1-line block ×3, first 2 shown]
	global_load_b128 v[86:89], v[160:161], off offset:304
	v_add_f64_e64 v[174:175], v[82:83], -v[206:207]
	v_add_f64_e64 v[176:177], v[84:85], -v[208:209]
	global_load_b128 v[82:85], v[160:161], off offset:288
	v_div_scale_f64 v[178:179], null, v[102:103], v[102:103], v[104:105]
	v_div_scale_f64 v[206:207], vcc_lo, v[104:105], v[102:103], v[104:105]
	v_div_scale_f64 v[180:181], null, v[102:103], v[102:103], v[172:173]
	v_div_scale_f64 v[186:187], null, v[102:103], v[102:103], v[174:175]
	v_div_scale_f64 v[208:209], s0, v[172:173], v[102:103], v[172:173]
	v_div_scale_f64 v[190:191], null, v[102:103], v[102:103], v[176:177]
	v_rcp_f64_e32 v[194:195], v[178:179]
	s_wait_loadcnt 0x3
	v_fmac_f64_e32 v[26:27], v[158:159], v[106:107]
	v_fmac_f64_e32 v[28:29], v[158:159], v[108:109]
	v_rcp_f64_e32 v[196:197], v[180:181]
	v_rcp_f64_e32 v[198:199], v[186:187]
	s_delay_alu instid0(VALU_DEP_3) | instskip(NEXT) | instid1(VALU_DEP_2)
	v_rcp_f64_e32 v[200:201], v[190:191]
	v_fma_f64 v[204:205], v[162:163], v[26:27], 0
	v_fma_f64 v[216:217], v[134:135], v[26:27], 0
	;; [unrolled: 1-line block ×5, first 2 shown]
	v_fma_f64 v[90:91], -v[178:179], v[194:195], 1.0
	s_delay_alu instid0(TRANS32_DEP_3) | instskip(NEXT) | instid1(TRANS32_DEP_2)
	v_fma_f64 v[92:93], -v[180:181], v[196:197], 1.0
	v_fma_f64 v[98:99], -v[186:187], v[198:199], 1.0
	s_delay_alu instid0(TRANS32_DEP_1) | instskip(NEXT) | instid1(VALU_DEP_4)
	v_fma_f64 v[100:101], -v[190:191], v[200:201], 1.0
	v_fmac_f64_e32 v[194:195], v[194:195], v[90:91]
	s_delay_alu instid0(VALU_DEP_4)
	v_fmac_f64_e32 v[196:197], v[196:197], v[92:93]
	global_load_b128 v[90:93], v[160:161], off offset:320
	v_fmac_f64_e32 v[198:199], v[198:199], v[98:99]
	v_fma_f64 v[98:99], v[164:165], v[26:27], 0
	v_fmac_f64_e32 v[200:201], v[200:201], v[100:101]
	v_fma_f64 v[100:101], -v[178:179], v[194:195], 1.0
	v_fma_f64 v[106:107], -v[180:181], v[196:197], 1.0
	;; [unrolled: 1-line block ×3, first 2 shown]
	v_add_f64_e64 v[28:29], v[28:29], -v[98:99]
	v_fma_f64 v[202:203], -v[190:191], v[200:201], 1.0
	s_wait_loadcnt 0x3
	v_fmac_f64_e32 v[78:79], v[158:159], v[118:119]
	v_fma_f64 v[118:119], v[136:137], v[26:27], 0
	v_fmac_f64_e32 v[80:81], v[158:159], v[120:121]
	v_fmac_f64_e32 v[194:195], v[194:195], v[100:101]
	global_load_b128 v[98:101], v[160:161], off offset:336
	v_fmac_f64_e32 v[196:197], v[196:197], v[106:107]
	v_div_scale_f64 v[106:107], s1, v[174:175], v[102:103], v[174:175]
	v_fmac_f64_e32 v[198:199], v[198:199], v[108:109]
	v_div_scale_f64 v[108:109], s2, v[176:177], v[102:103], v[176:177]
	v_fmac_f64_e32 v[200:201], v[200:201], v[202:203]
	v_fmac_f64_e32 v[204:205], v[44:45], v[28:29]
	v_fmac_f64_e32 v[216:217], v[110:111], v[28:29]
	v_fmac_f64_e32 v[218:219], v[112:113], v[28:29]
	v_fmac_f64_e32 v[220:221], v[184:185], v[28:29]
	v_fmac_f64_e32 v[222:223], v[188:189], v[28:29]
	v_fmac_f64_e32 v[118:119], v[36:37], v[28:29]
	v_mul_f64_e32 v[202:203], v[206:207], v[194:195]
	v_mul_f64_e32 v[210:211], v[208:209], v[196:197]
	;; [unrolled: 1-line block ×4, first 2 shown]
	v_add_f64_e64 v[204:205], v[78:79], -v[204:205]
	v_fma_f64 v[78:79], -v[178:179], v[202:203], v[206:207]
	v_fma_f64 v[178:179], -v[180:181], v[210:211], v[208:209]
	;; [unrolled: 1-line block ×4, first 2 shown]
	v_fmac_f64_e32 v[118:119], v[124:125], v[204:205]
	v_fmac_f64_e32 v[216:217], v[132:133], v[204:205]
	;; [unrolled: 1-line block ×5, first 2 shown]
	v_div_fmas_f64 v[78:79], v[78:79], v[194:195], v[202:203]
	s_mov_b32 vcc_lo, s0
	v_div_fmas_f64 v[120:121], v[178:179], v[196:197], v[210:211]
	s_mov_b32 vcc_lo, s1
	;; [unrolled: 2-line block ×3, first 2 shown]
	v_div_fmas_f64 v[108:109], v[108:109], v[200:201], v[214:215]
	v_add_f64_e64 v[118:119], v[80:81], -v[118:119]
	s_wait_loadcnt 0x3
	v_fmac_f64_e32 v[70:71], v[158:159], v[86:87]
	v_fmac_f64_e32 v[72:73], v[158:159], v[88:89]
	v_div_fixup_f64 v[104:105], v[78:79], v[102:103], v[104:105]
	global_load_b128 v[78:81], v[160:161], off offset:352
	v_div_fixup_f64 v[120:121], v[120:121], v[102:103], v[172:173]
	s_wait_loadcnt 0x3
	v_fmac_f64_e32 v[74:75], v[158:159], v[82:83]
	v_fmac_f64_e32 v[76:77], v[158:159], v[84:85]
	v_div_fixup_f64 v[106:107], v[106:107], v[102:103], v[174:175]
	v_div_fixup_f64 v[108:109], v[108:109], v[102:103], v[176:177]
	v_fmac_f64_e32 v[216:217], v[104:105], v[118:119]
	v_fmac_f64_e32 v[218:219], v[120:121], v[118:119]
	s_delay_alu instid0(VALU_DEP_4) | instskip(NEXT) | instid1(VALU_DEP_4)
	v_fmac_f64_e32 v[220:221], v[106:107], v[118:119]
	v_fmac_f64_e32 v[222:223], v[108:109], v[118:119]
	s_delay_alu instid0(VALU_DEP_4) | instskip(NEXT) | instid1(VALU_DEP_4)
	v_add_f64_e64 v[86:87], v[74:75], -v[216:217]
	v_add_f64_e64 v[88:89], v[76:77], -v[218:219]
	global_load_b128 v[74:77], v[160:161], off offset:384
	v_add_f64_e64 v[172:173], v[70:71], -v[220:221]
	v_add_f64_e64 v[174:175], v[72:73], -v[222:223]
	global_load_b128 v[70:73], v[160:161], off offset:368
	v_div_scale_f64 v[176:177], null, v[86:87], v[86:87], v[88:89]
	v_div_scale_f64 v[178:179], null, v[86:87], v[86:87], v[172:173]
	;; [unrolled: 1-line block ×3, first 2 shown]
	s_delay_alu instid0(VALU_DEP_3) | instskip(SKIP_3) | instid1(VALU_DEP_4)
	v_rcp_f64_e32 v[186:187], v[176:177]
	s_wait_loadcnt 0x4
	v_fmac_f64_e32 v[22:23], v[158:159], v[90:91]
	v_fmac_f64_e32 v[24:25], v[158:159], v[92:93]
	v_rcp_f64_e32 v[90:91], v[178:179]
	s_delay_alu instid0(VALU_DEP_3) | instskip(NEXT) | instid1(VALU_DEP_2)
	v_rcp_f64_e32 v[190:191], v[180:181]
	v_fma_f64 v[82:83], v[164:165], v[22:23], 0
	v_fma_f64 v[196:197], v[162:163], v[22:23], 0
	;; [unrolled: 1-line block ×4, first 2 shown]
	s_delay_alu instid0(TRANS32_DEP_3) | instskip(NEXT) | instid1(TRANS32_DEP_2)
	v_fma_f64 v[84:85], -v[176:177], v[186:187], 1.0
	v_fma_f64 v[92:93], -v[178:179], v[90:91], 1.0
	s_delay_alu instid0(TRANS32_DEP_1)
	v_fma_f64 v[194:195], -v[180:181], v[190:191], 1.0
	s_wait_loadcnt 0x3
	v_fmac_f64_e32 v[66:67], v[158:159], v[98:99]
	v_fmac_f64_e32 v[68:69], v[158:159], v[100:101]
	v_fma_f64 v[100:101], v[130:131], v[22:23], 0
	v_add_f64_e64 v[24:25], v[24:25], -v[82:83]
	v_fmac_f64_e32 v[186:187], v[186:187], v[84:85]
	global_load_b128 v[82:85], v[160:161], off offset:400
	v_fmac_f64_e32 v[90:91], v[90:91], v[92:93]
	v_fma_f64 v[92:93], v[136:137], v[22:23], 0
	v_fmac_f64_e32 v[190:191], v[190:191], v[194:195]
	v_fmac_f64_e32 v[196:197], v[44:45], v[24:25]
	v_fmac_f64_e32 v[200:201], v[110:111], v[24:25]
	v_fmac_f64_e32 v[100:101], v[112:113], v[24:25]
	v_fmac_f64_e32 v[202:203], v[188:189], v[24:25]
	v_fma_f64 v[98:99], -v[176:177], v[186:187], 1.0
	v_fma_f64 v[194:195], -v[178:179], v[90:91], 1.0
	v_fmac_f64_e32 v[92:93], v[36:37], v[24:25]
	v_fma_f64 v[198:199], -v[180:181], v[190:191], 1.0
	v_add_f64_e64 v[196:197], v[66:67], -v[196:197]
	v_div_scale_f64 v[66:67], vcc_lo, v[88:89], v[86:87], v[88:89]
	v_fmac_f64_e32 v[186:187], v[186:187], v[98:99]
	v_div_scale_f64 v[98:99], s0, v[172:173], v[86:87], v[172:173]
	v_fmac_f64_e32 v[90:91], v[90:91], v[194:195]
	v_div_scale_f64 v[194:195], s1, v[174:175], v[86:87], v[174:175]
	v_fmac_f64_e32 v[190:191], v[190:191], v[198:199]
	v_fma_f64 v[198:199], v[126:127], v[22:23], 0
	v_fmac_f64_e32 v[92:93], v[124:125], v[196:197]
	v_fmac_f64_e32 v[200:201], v[132:133], v[196:197]
	;; [unrolled: 1-line block ×4, first 2 shown]
	v_mul_f64_e32 v[206:207], v[66:67], v[186:187]
	v_mul_f64_e32 v[208:209], v[98:99], v[90:91]
	;; [unrolled: 1-line block ×3, first 2 shown]
	v_fmac_f64_e32 v[198:199], v[184:185], v[24:25]
	s_wait_loadcnt 0x3
	v_fmac_f64_e32 v[62:63], v[158:159], v[78:79]
	v_fmac_f64_e32 v[64:65], v[158:159], v[80:81]
	v_add_f64_e64 v[92:93], v[68:69], -v[92:93]
	v_fma_f64 v[176:177], -v[176:177], v[206:207], v[66:67]
	global_load_b128 v[66:69], v[160:161], off offset:416
	v_fma_f64 v[98:99], -v[178:179], v[208:209], v[98:99]
	v_fma_f64 v[178:179], -v[180:181], v[210:211], v[194:195]
	v_fmac_f64_e32 v[198:199], v[168:169], v[196:197]
	v_fmac_f64_e32 v[200:201], v[104:105], v[92:93]
	v_fmac_f64_e32 v[100:101], v[120:121], v[92:93]
	v_fmac_f64_e32 v[202:203], v[108:109], v[92:93]
	v_div_fmas_f64 v[78:79], v[176:177], v[186:187], v[206:207]
	s_mov_b32 vcc_lo, s0
	v_div_fmas_f64 v[90:91], v[98:99], v[90:91], v[208:209]
	s_mov_b32 vcc_lo, s1
	v_div_fmas_f64 v[98:99], v[178:179], v[190:191], v[210:211]
	v_fmac_f64_e32 v[198:199], v[106:107], v[92:93]
	v_add_f64_e64 v[62:63], v[62:63], -v[200:201]
	s_wait_loadcnt 0x3
	v_fmac_f64_e32 v[18:19], v[158:159], v[74:75]
	v_fmac_f64_e32 v[20:21], v[158:159], v[76:77]
	v_div_fixup_f64 v[78:79], v[78:79], v[86:87], v[88:89]
	s_wait_loadcnt 0x2
	v_fmac_f64_e32 v[58:59], v[158:159], v[70:71]
	v_fmac_f64_e32 v[60:61], v[158:159], v[72:73]
	v_div_fixup_f64 v[88:89], v[90:91], v[86:87], v[172:173]
	v_div_fixup_f64 v[90:91], v[98:99], v[86:87], v[174:175]
	v_fma_f64 v[80:81], v[164:165], v[18:19], 0
	v_fma_f64 v[176:177], v[134:135], v[18:19], 0
	v_fma_f64 v[178:179], v[40:41], v[18:19], 0
	v_fmac_f64_e32 v[100:101], v[78:79], v[62:63]
	v_fmac_f64_e32 v[198:199], v[88:89], v[62:63]
	;; [unrolled: 1-line block ×3, first 2 shown]
	v_add_f64_e64 v[80:81], v[20:21], -v[80:81]
	v_fma_f64 v[20:21], v[136:137], v[18:19], 0
	v_add_f64_e64 v[64:65], v[64:65], -v[100:101]
	v_fma_f64 v[100:101], v[162:163], v[18:19], 0
	v_add_f64_e64 v[70:71], v[58:59], -v[198:199]
	v_add_f64_e64 v[72:73], v[60:61], -v[202:203]
	global_load_b128 v[58:61], v[160:161], off offset:432
	v_fmac_f64_e32 v[176:177], v[110:111], v[80:81]
	v_fmac_f64_e32 v[20:21], v[36:37], v[80:81]
	;; [unrolled: 1-line block ×4, first 2 shown]
	v_div_scale_f64 v[74:75], null, v[64:65], v[64:65], v[70:71]
	v_div_scale_f64 v[76:77], null, v[64:65], v[64:65], v[72:73]
	s_wait_loadcnt 0x2
	v_fmac_f64_e32 v[54:55], v[158:159], v[82:83]
	v_fmac_f64_e32 v[56:57], v[158:159], v[84:85]
	s_delay_alu instid0(VALU_DEP_4) | instskip(NEXT) | instid1(VALU_DEP_3)
	v_rcp_f64_e32 v[98:99], v[74:75]
	v_rcp_f64_e32 v[172:173], v[76:77]
	s_delay_alu instid0(VALU_DEP_2) | instskip(NEXT) | instid1(TRANS32_DEP_2)
	v_add_f64_e64 v[54:55], v[54:55], -v[100:101]
	v_fma_f64 v[82:83], -v[74:75], v[98:99], 1.0
	s_delay_alu instid0(TRANS32_DEP_1) | instskip(NEXT) | instid1(VALU_DEP_3)
	v_fma_f64 v[174:175], -v[76:77], v[172:173], 1.0
	v_fmac_f64_e32 v[20:21], v[124:125], v[54:55]
	v_fmac_f64_e32 v[176:177], v[132:133], v[54:55]
	;; [unrolled: 1-line block ×4, first 2 shown]
	v_fma_f64 v[82:83], v[130:131], v[18:19], 0
	v_fmac_f64_e32 v[172:173], v[172:173], v[174:175]
	v_fma_f64 v[174:175], v[126:127], v[18:19], 0
	v_add_f64_e64 v[56:57], v[56:57], -v[20:21]
	v_div_scale_f64 v[20:21], vcc_lo, v[70:71], v[64:65], v[70:71]
	v_fma_f64 v[84:85], -v[74:75], v[98:99], 1.0
	v_fmac_f64_e32 v[82:83], v[112:113], v[80:81]
	v_fma_f64 v[100:101], -v[76:77], v[172:173], 1.0
	v_fmac_f64_e32 v[174:175], v[184:185], v[80:81]
	s_wait_loadcnt 0x1
	v_fmac_f64_e32 v[50:51], v[158:159], v[66:67]
	v_fmac_f64_e32 v[176:177], v[104:105], v[56:57]
	;; [unrolled: 1-line block ×5, first 2 shown]
	v_div_scale_f64 v[84:85], s0, v[72:73], v[64:65], v[72:73]
	v_fmac_f64_e32 v[172:173], v[172:173], v[100:101]
	v_fmac_f64_e32 v[82:83], v[166:167], v[54:55]
	;; [unrolled: 1-line block ×3, first 2 shown]
	v_add_f64_e64 v[50:51], v[50:51], -v[176:177]
	v_mul_f64_e32 v[66:67], v[20:21], v[98:99]
	v_mul_f64_e32 v[100:101], v[84:85], v[172:173]
	v_fmac_f64_e32 v[82:83], v[120:121], v[56:57]
	v_fmac_f64_e32 v[174:175], v[106:107], v[56:57]
	;; [unrolled: 1-line block ×3, first 2 shown]
	v_fma_f64 v[20:21], -v[74:75], v[66:67], v[20:21]
	v_fma_f64 v[74:75], -v[76:77], v[100:101], v[84:85]
	v_fmac_f64_e32 v[82:83], v[78:79], v[50:51]
	v_fmac_f64_e32 v[174:175], v[88:89], v[50:51]
	s_delay_alu instid0(VALU_DEP_4) | instskip(SKIP_1) | instid1(VALU_DEP_4)
	v_div_fmas_f64 v[20:21], v[20:21], v[98:99], v[66:67]
	s_mov_b32 vcc_lo, s0
	v_div_fmas_f64 v[66:67], v[74:75], v[172:173], v[100:101]
	s_delay_alu instid0(VALU_DEP_4)
	v_add_f64_e64 v[52:53], v[52:53], -v[82:83]
	s_wait_loadcnt 0x0
	v_fmac_f64_e32 v[46:47], v[158:159], v[58:59]
	v_fmac_f64_e32 v[48:49], v[158:159], v[60:61]
	v_div_fixup_f64 v[68:69], v[20:21], v[64:65], v[70:71]
	v_div_scale_f64 v[58:59], null, v[38:39], v[38:39], v[142:143]
	v_div_fixup_f64 v[66:67], v[66:67], v[64:65], v[72:73]
	s_delay_alu instid0(VALU_DEP_3) | instskip(NEXT) | instid1(VALU_DEP_3)
	v_fmac_f64_e32 v[174:175], v[68:69], v[52:53]
	v_rcp_f64_e32 v[70:71], v[58:59]
	s_delay_alu instid0(VALU_DEP_2) | instskip(NEXT) | instid1(VALU_DEP_2)
	v_fmac_f64_e32 v[178:179], v[66:67], v[52:53]
	v_add_f64_e64 v[46:47], v[46:47], -v[174:175]
	s_delay_alu instid0(VALU_DEP_2) | instskip(NEXT) | instid1(TRANS32_DEP_1)
	v_add_f64_e64 v[48:49], v[48:49], -v[178:179]
	v_fma_f64 v[74:75], -v[58:59], v[70:71], 1.0
	s_delay_alu instid0(VALU_DEP_2) | instskip(SKIP_1) | instid1(VALU_DEP_3)
	v_div_scale_f64 v[20:21], null, v[46:47], v[46:47], v[48:49]
	v_div_scale_f64 v[76:77], vcc_lo, v[48:49], v[46:47], v[48:49]
	v_fmac_f64_e32 v[70:71], v[70:71], v[74:75]
	s_delay_alu instid0(VALU_DEP_3) | instskip(NEXT) | instid1(VALU_DEP_1)
	v_rcp_f64_e32 v[60:61], v[20:21]
	v_fma_f64 v[74:75], -v[58:59], v[70:71], 1.0
	s_delay_alu instid0(VALU_DEP_1) | instskip(NEXT) | instid1(TRANS32_DEP_1)
	v_fmac_f64_e32 v[70:71], v[70:71], v[74:75]
	v_fma_f64 v[72:73], -v[20:21], v[60:61], 1.0
	s_delay_alu instid0(VALU_DEP_1) | instskip(NEXT) | instid1(VALU_DEP_1)
	v_fmac_f64_e32 v[60:61], v[60:61], v[72:73]
	v_fma_f64 v[72:73], -v[20:21], v[60:61], 1.0
	s_delay_alu instid0(VALU_DEP_1) | instskip(SKIP_1) | instid1(VALU_DEP_2)
	v_fmac_f64_e32 v[60:61], v[60:61], v[72:73]
	v_div_scale_f64 v[72:73], s0, v[142:143], v[38:39], v[142:143]
	v_mul_f64_e32 v[74:75], v[76:77], v[60:61]
	s_delay_alu instid0(VALU_DEP_2) | instskip(NEXT) | instid1(VALU_DEP_2)
	v_mul_f64_e32 v[82:83], v[72:73], v[70:71]
	v_fma_f64 v[20:21], -v[20:21], v[74:75], v[76:77]
	s_delay_alu instid0(VALU_DEP_2) | instskip(NEXT) | instid1(VALU_DEP_2)
	v_fma_f64 v[58:59], -v[58:59], v[82:83], v[72:73]
	v_div_fmas_f64 v[60:61], v[20:21], v[60:61], v[74:75]
	s_mov_b32 vcc_lo, s0
	s_delay_alu instid0(VALU_DEP_2) | instskip(NEXT) | instid1(VALU_DEP_1)
	v_div_fmas_f64 v[20:21], v[58:59], v[70:71], v[82:83]
	v_div_fixup_f64 v[38:39], v[20:21], v[38:39], v[142:143]
	s_delay_alu instid0(VALU_DEP_1)
	v_fma_f64 v[20:21], v[38:39], v[42:43], 0
	v_fma_f64 v[34:35], v[38:39], v[34:35], 0
	;; [unrolled: 1-line block ×6, first 2 shown]
	v_add_f64_e64 v[20:21], v[144:145], -v[20:21]
	s_delay_alu instid0(VALU_DEP_1) | instskip(SKIP_1) | instid1(VALU_DEP_2)
	v_div_scale_f64 v[42:43], null, v[128:129], v[128:129], v[20:21]
	v_div_scale_f64 v[72:73], vcc_lo, v[20:21], v[128:129], v[20:21]
	v_rcp_f64_e32 v[58:59], v[42:43]
	v_nop
	s_delay_alu instid0(TRANS32_DEP_1) | instskip(NEXT) | instid1(VALU_DEP_1)
	v_fma_f64 v[70:71], -v[42:43], v[58:59], 1.0
	v_fmac_f64_e32 v[58:59], v[58:59], v[70:71]
	s_delay_alu instid0(VALU_DEP_1) | instskip(NEXT) | instid1(VALU_DEP_1)
	v_fma_f64 v[70:71], -v[42:43], v[58:59], 1.0
	v_fmac_f64_e32 v[58:59], v[58:59], v[70:71]
	s_delay_alu instid0(VALU_DEP_1) | instskip(NEXT) | instid1(VALU_DEP_1)
	v_mul_f64_e32 v[70:71], v[72:73], v[58:59]
	v_fma_f64 v[42:43], -v[42:43], v[70:71], v[72:73]
	s_delay_alu instid0(VALU_DEP_1) | instskip(NEXT) | instid1(VALU_DEP_1)
	v_div_fmas_f64 v[42:43], v[42:43], v[58:59], v[70:71]
	v_div_fixup_f64 v[42:43], v[42:43], v[128:129], v[20:21]
	s_delay_alu instid0(VALU_DEP_1)
	v_fmac_f64_e32 v[34:35], v[42:43], v[182:183]
	v_fmac_f64_e32 v[30:31], v[42:43], v[32:33]
	;; [unrolled: 1-line block ×5, first 2 shown]
	v_add_f64_e64 v[20:21], v[138:139], -v[34:35]
	s_delay_alu instid0(VALU_DEP_1) | instskip(SKIP_1) | instid1(VALU_DEP_2)
	v_div_scale_f64 v[34:35], null, v[122:123], v[122:123], v[20:21]
	v_div_scale_f64 v[72:73], vcc_lo, v[20:21], v[122:123], v[20:21]
	v_rcp_f64_e32 v[58:59], v[34:35]
	v_nop
	s_delay_alu instid0(TRANS32_DEP_1) | instskip(NEXT) | instid1(VALU_DEP_1)
	v_fma_f64 v[70:71], -v[34:35], v[58:59], 1.0
	v_fmac_f64_e32 v[58:59], v[58:59], v[70:71]
	s_delay_alu instid0(VALU_DEP_1) | instskip(NEXT) | instid1(VALU_DEP_1)
	v_fma_f64 v[70:71], -v[34:35], v[58:59], 1.0
	v_fmac_f64_e32 v[58:59], v[58:59], v[70:71]
	s_delay_alu instid0(VALU_DEP_1) | instskip(NEXT) | instid1(VALU_DEP_1)
	v_mul_f64_e32 v[70:71], v[72:73], v[58:59]
	v_fma_f64 v[34:35], -v[34:35], v[70:71], v[72:73]
	s_delay_alu instid0(VALU_DEP_1) | instskip(NEXT) | instid1(VALU_DEP_1)
	v_div_fmas_f64 v[34:35], v[34:35], v[58:59], v[70:71]
	v_div_fixup_f64 v[32:33], v[34:35], v[122:123], v[20:21]
	s_delay_alu instid0(VALU_DEP_1) | instskip(SKIP_3) | instid1(VALU_DEP_4)
	v_fmac_f64_e32 v[30:31], v[32:33], v[192:193]
	v_fmac_f64_e32 v[26:27], v[32:33], v[204:205]
	;; [unrolled: 1-line block ×4, first 2 shown]
	v_add_f64_e64 v[20:21], v[140:141], -v[30:31]
	s_delay_alu instid0(VALU_DEP_1) | instskip(SKIP_1) | instid1(VALU_DEP_2)
	v_div_scale_f64 v[30:31], null, v[102:103], v[102:103], v[20:21]
	v_div_scale_f64 v[70:71], vcc_lo, v[20:21], v[102:103], v[20:21]
	v_rcp_f64_e32 v[34:35], v[30:31]
	v_nop
	s_delay_alu instid0(TRANS32_DEP_1) | instskip(NEXT) | instid1(VALU_DEP_1)
	v_fma_f64 v[58:59], -v[30:31], v[34:35], 1.0
	v_fmac_f64_e32 v[34:35], v[34:35], v[58:59]
	s_delay_alu instid0(VALU_DEP_1) | instskip(NEXT) | instid1(VALU_DEP_1)
	v_fma_f64 v[58:59], -v[30:31], v[34:35], 1.0
	v_fmac_f64_e32 v[34:35], v[34:35], v[58:59]
	s_delay_alu instid0(VALU_DEP_1) | instskip(NEXT) | instid1(VALU_DEP_1)
	v_mul_f64_e32 v[58:59], v[70:71], v[34:35]
	v_fma_f64 v[30:31], -v[30:31], v[58:59], v[70:71]
	s_delay_alu instid0(VALU_DEP_1) | instskip(NEXT) | instid1(VALU_DEP_1)
	v_div_fmas_f64 v[28:29], v[30:31], v[34:35], v[58:59]
	v_div_fixup_f64 v[34:35], v[28:29], v[102:103], v[20:21]
	s_delay_alu instid0(VALU_DEP_1) | instskip(SKIP_2) | instid1(VALU_DEP_3)
	v_fmac_f64_e32 v[26:27], v[34:35], v[118:119]
	v_fmac_f64_e32 v[22:23], v[34:35], v[92:93]
	;; [unrolled: 1-line block ×3, first 2 shown]
	v_add_f64_e64 v[20:21], v[114:115], -v[26:27]
	s_delay_alu instid0(VALU_DEP_1) | instskip(SKIP_1) | instid1(VALU_DEP_2)
	v_div_scale_f64 v[26:27], null, v[86:87], v[86:87], v[20:21]
	v_div_scale_f64 v[58:59], vcc_lo, v[20:21], v[86:87], v[20:21]
	v_rcp_f64_e32 v[28:29], v[26:27]
	v_nop
	s_delay_alu instid0(TRANS32_DEP_1) | instskip(NEXT) | instid1(VALU_DEP_1)
	v_fma_f64 v[30:31], -v[26:27], v[28:29], 1.0
	v_fmac_f64_e32 v[28:29], v[28:29], v[30:31]
	s_delay_alu instid0(VALU_DEP_1) | instskip(NEXT) | instid1(VALU_DEP_1)
	v_fma_f64 v[30:31], -v[26:27], v[28:29], 1.0
	v_fmac_f64_e32 v[28:29], v[28:29], v[30:31]
	s_delay_alu instid0(VALU_DEP_1) | instskip(NEXT) | instid1(VALU_DEP_1)
	v_mul_f64_e32 v[30:31], v[58:59], v[28:29]
	v_fma_f64 v[24:25], -v[26:27], v[30:31], v[58:59]
	s_delay_alu instid0(VALU_DEP_1) | instskip(NEXT) | instid1(VALU_DEP_1)
	v_div_fmas_f64 v[24:25], v[24:25], v[28:29], v[30:31]
	v_div_fixup_f64 v[58:59], v[24:25], v[86:87], v[20:21]
	global_load_b128 v[24:27], v[160:161], off offset:464
	v_fmac_f64_e32 v[22:23], v[58:59], v[62:63]
	v_fmac_f64_e32 v[74:75], v[58:59], v[50:51]
	s_delay_alu instid0(VALU_DEP_2) | instskip(SKIP_3) | instid1(VALU_DEP_2)
	v_add_f64_e64 v[62:63], v[116:117], -v[22:23]
	global_load_b128 v[20:23], v[160:161], off offset:448
	v_div_scale_f64 v[70:71], null, v[64:65], v[64:65], v[62:63]
	v_div_scale_f64 v[18:19], vcc_lo, v[62:63], v[64:65], v[62:63]
	v_rcp_f64_e32 v[72:73], v[70:71]
	v_nop
	s_delay_alu instid0(TRANS32_DEP_1) | instskip(NEXT) | instid1(VALU_DEP_1)
	v_fma_f64 v[28:29], -v[70:71], v[72:73], 1.0
	v_fmac_f64_e32 v[72:73], v[72:73], v[28:29]
	s_delay_alu instid0(VALU_DEP_1) | instskip(NEXT) | instid1(VALU_DEP_1)
	v_fma_f64 v[28:29], -v[70:71], v[72:73], 1.0
	v_fmac_f64_e32 v[72:73], v[72:73], v[28:29]
	global_load_b128 v[28:31], v[160:161], off offset:480
	v_mul_f64_e32 v[76:77], v[18:19], v[72:73]
	s_wait_loadcnt 0x2
	v_fmac_f64_e32 v[14:15], v[158:159], v[24:25]
	v_fmac_f64_e32 v[16:17], v[158:159], v[26:27]
	s_delay_alu instid0(VALU_DEP_3) | instskip(NEXT) | instid1(VALU_DEP_1)
	v_fma_f64 v[18:19], -v[70:71], v[76:77], v[18:19]
	v_div_fmas_f64 v[18:19], v[18:19], v[72:73], v[76:77]
	s_wait_loadcnt 0x1
	v_fmac_f64_e32 v[10:11], v[158:159], v[20:21]
	v_fmac_f64_e32 v[12:13], v[158:159], v[22:23]
	s_delay_alu instid0(VALU_DEP_3)
	v_div_fixup_f64 v[50:51], v[18:19], v[64:65], v[62:63]
	global_load_b128 v[18:21], v[160:161], off offset:496
	v_fma_f64 v[22:23], v[164:165], v[10:11], 0
	v_fma_f64 v[54:55], v[162:163], v[10:11], 0
	;; [unrolled: 1-line block ×5, first 2 shown]
	v_fmac_f64_e32 v[74:75], v[50:51], v[52:53]
	v_fma_f64 v[64:65], v[126:127], v[10:11], 0
	v_add_f64_e64 v[12:13], v[12:13], -v[22:23]
	s_delay_alu instid0(VALU_DEP_3) | instskip(NEXT) | instid1(VALU_DEP_2)
	v_add_f64_e64 v[52:53], v[94:95], -v[74:75]
	v_fmac_f64_e32 v[54:55], v[44:45], v[12:13]
	v_fmac_f64_e32 v[24:25], v[36:37], v[12:13]
	;; [unrolled: 1-line block ×5, first 2 shown]
	v_div_scale_f64 v[22:23], null, v[46:47], v[46:47], v[52:53]
	v_add_f64_e64 v[14:15], v[14:15], -v[54:55]
	s_delay_alu instid0(VALU_DEP_2) | instskip(NEXT) | instid1(VALU_DEP_1)
	v_rcp_f64_e32 v[62:63], v[22:23]
	v_fmac_f64_e32 v[24:25], v[124:125], v[14:15]
	v_fmac_f64_e32 v[56:57], v[132:133], v[14:15]
	;; [unrolled: 1-line block ×4, first 2 shown]
	s_delay_alu instid0(TRANS32_DEP_1)
	v_fma_f64 v[54:55], -v[22:23], v[62:63], 1.0
	v_add_f64_e64 v[16:17], v[16:17], -v[24:25]
	v_fma_f64 v[24:25], v[40:41], v[10:11], 0
	v_fma_f64 v[10:11], v[38:39], v[10:11], 0
	s_wait_loadcnt 0x1
	v_fmac_f64_e32 v[6:7], v[158:159], v[28:29]
	v_fmac_f64_e32 v[8:9], v[158:159], v[30:31]
	;; [unrolled: 1-line block ×7, first 2 shown]
	v_div_scale_f64 v[12:13], vcc_lo, v[52:53], v[46:47], v[52:53]
	v_fmac_f64_e32 v[64:65], v[106:107], v[16:17]
	v_fma_f64 v[28:29], -v[22:23], v[62:63], 1.0
	v_add_f64_e64 v[6:7], v[6:7], -v[56:57]
	v_fmac_f64_e32 v[24:25], v[170:171], v[14:15]
	v_fmac_f64_e32 v[10:11], v[32:33], v[14:15]
	s_delay_alu instid0(VALU_DEP_4) | instskip(NEXT) | instid1(VALU_DEP_4)
	v_fmac_f64_e32 v[62:63], v[62:63], v[28:29]
	v_fmac_f64_e32 v[26:27], v[78:79], v[6:7]
	s_delay_alu instid0(VALU_DEP_4)
	v_fmac_f64_e32 v[24:25], v[108:109], v[16:17]
	v_fmac_f64_e32 v[64:65], v[88:89], v[6:7]
	;; [unrolled: 1-line block ×3, first 2 shown]
	v_mul_f64_e32 v[14:15], v[12:13], v[62:63]
	v_add_f64_e64 v[8:9], v[8:9], -v[26:27]
	v_fmac_f64_e32 v[24:25], v[90:91], v[6:7]
	s_delay_alu instid0(VALU_DEP_4)
	v_fmac_f64_e32 v[10:11], v[58:59], v[6:7]
	s_wait_loadcnt 0x0
	v_fmac_f64_e32 v[2:3], v[158:159], v[18:19]
	v_fmac_f64_e32 v[4:5], v[158:159], v[20:21]
	v_add_nc_u64_e32 v[18:19], s[24:25], v[156:157]
	v_fma_f64 v[12:13], -v[22:23], v[14:15], v[12:13]
	v_fmac_f64_e32 v[64:65], v[68:69], v[8:9]
	v_fmac_f64_e32 v[24:25], v[66:67], v[8:9]
	;; [unrolled: 1-line block ×3, first 2 shown]
	s_delay_alu instid0(VALU_DEP_4) | instskip(SKIP_2) | instid1(VALU_DEP_3)
	v_div_fmas_f64 v[6:7], v[12:13], v[62:63], v[14:15]
	v_div_fixup_f64 v[12:13], v[60:61], v[46:47], v[48:49]
	v_add_f64_e64 v[2:3], v[2:3], -v[64:65]
	v_div_fixup_f64 v[6:7], v[6:7], v[46:47], v[52:53]
	s_delay_alu instid0(VALU_DEP_2) | instskip(NEXT) | instid1(VALU_DEP_2)
	v_fmac_f64_e32 v[24:25], v[12:13], v[2:3]
	v_fmac_f64_e32 v[10:11], v[6:7], v[2:3]
	s_delay_alu instid0(VALU_DEP_2) | instskip(NEXT) | instid1(VALU_DEP_2)
	v_add_f64_e64 v[2:3], v[4:5], -v[24:25]
	v_add_f64_e64 v[4:5], v[96:97], -v[10:11]
	s_delay_alu instid0(VALU_DEP_1) | instskip(NEXT) | instid1(VALU_DEP_1)
	v_div_scale_f64 v[8:9], null, v[2:3], v[2:3], v[4:5]
	v_rcp_f64_e32 v[10:11], v[8:9]
	v_nop
	s_delay_alu instid0(TRANS32_DEP_1) | instskip(NEXT) | instid1(VALU_DEP_1)
	v_fma_f64 v[14:15], -v[8:9], v[10:11], 1.0
	v_fmac_f64_e32 v[10:11], v[10:11], v[14:15]
	s_delay_alu instid0(VALU_DEP_1) | instskip(NEXT) | instid1(VALU_DEP_1)
	v_fma_f64 v[14:15], -v[8:9], v[10:11], 1.0
	v_fmac_f64_e32 v[10:11], v[10:11], v[14:15]
	v_div_scale_f64 v[14:15], vcc_lo, v[4:5], v[2:3], v[4:5]
	s_delay_alu instid0(VALU_DEP_1) | instskip(NEXT) | instid1(VALU_DEP_1)
	v_mul_f64_e32 v[16:17], v[14:15], v[10:11]
	v_fma_f64 v[8:9], -v[8:9], v[16:17], v[14:15]
	s_delay_alu instid0(VALU_DEP_1) | instskip(SKIP_2) | instid1(VALU_DEP_2)
	v_div_fmas_f64 v[8:9], v[8:9], v[10:11], v[16:17]
	v_cmp_le_i64_e32 vcc_lo, s[44:45], v[154:155]
	s_or_b32 s46, vcc_lo, s46
	v_div_fixup_f64 v[4:5], v[8:9], v[2:3], v[4:5]
	s_delay_alu instid0(VALU_DEP_1) | instskip(NEXT) | instid1(VALU_DEP_1)
	v_fma_f64 v[2:3], v[12:13], v[4:5], 0
	v_add_f64_e64 v[2:3], v[6:7], -v[2:3]
	s_delay_alu instid0(VALU_DEP_1) | instskip(NEXT) | instid1(VALU_DEP_1)
	v_fma_f64 v[6:7], v[68:69], v[2:3], 0
	v_fmac_f64_e32 v[6:7], v[66:67], v[4:5]
	s_delay_alu instid0(VALU_DEP_1) | instskip(NEXT) | instid1(VALU_DEP_1)
	v_add_f64_e64 v[8:9], v[50:51], -v[6:7]
	v_fma_f64 v[6:7], v[78:79], v[8:9], 0
	s_delay_alu instid0(VALU_DEP_1) | instskip(NEXT) | instid1(VALU_DEP_1)
	v_fmac_f64_e32 v[6:7], v[88:89], v[2:3]
	v_fmac_f64_e32 v[6:7], v[90:91], v[4:5]
	s_delay_alu instid0(VALU_DEP_1) | instskip(SKIP_4) | instid1(VALU_DEP_1)
	v_add_f64_e64 v[6:7], v[58:59], -v[6:7]
	s_clause 0x1
	global_store_b128 v[18:19], v[2:5], off offset:48
	global_store_b128 v[18:19], v[6:9], off offset:32
	v_fma_f64 v[10:11], v[104:105], v[6:7], 0
	v_fmac_f64_e32 v[10:11], v[120:121], v[8:9]
	s_delay_alu instid0(VALU_DEP_1) | instskip(NEXT) | instid1(VALU_DEP_1)
	v_fmac_f64_e32 v[10:11], v[106:107], v[2:3]
	v_fmac_f64_e32 v[10:11], v[108:109], v[4:5]
	s_delay_alu instid0(VALU_DEP_1) | instskip(NEXT) | instid1(VALU_DEP_1)
	v_add_f64_e64 v[12:13], v[34:35], -v[10:11]
	v_fma_f64 v[10:11], v[124:125], v[12:13], 0
	s_delay_alu instid0(VALU_DEP_1) | instskip(NEXT) | instid1(VALU_DEP_1)
	v_fmac_f64_e32 v[10:11], v[132:133], v[6:7]
	v_fmac_f64_e32 v[10:11], v[166:167], v[8:9]
	s_delay_alu instid0(VALU_DEP_1) | instskip(NEXT) | instid1(VALU_DEP_1)
	v_fmac_f64_e32 v[10:11], v[168:169], v[2:3]
	v_fmac_f64_e32 v[10:11], v[170:171], v[4:5]
	s_delay_alu instid0(VALU_DEP_1) | instskip(NEXT) | instid1(VALU_DEP_1)
	v_add_f64_e64 v[10:11], v[32:33], -v[10:11]
	v_fma_f64 v[14:15], v[44:45], v[10:11], 0
	s_delay_alu instid0(VALU_DEP_1) | instskip(NEXT) | instid1(VALU_DEP_1)
	v_fmac_f64_e32 v[14:15], v[36:37], v[12:13]
	v_fmac_f64_e32 v[14:15], v[110:111], v[6:7]
	s_delay_alu instid0(VALU_DEP_1) | instskip(NEXT) | instid1(VALU_DEP_1)
	v_fmac_f64_e32 v[14:15], v[112:113], v[8:9]
	v_fmac_f64_e32 v[14:15], v[184:185], v[2:3]
	s_delay_alu instid0(VALU_DEP_1) | instskip(NEXT) | instid1(VALU_DEP_1)
	v_fmac_f64_e32 v[14:15], v[188:189], v[4:5]
	v_add_f64_e64 v[16:17], v[42:43], -v[14:15]
	s_delay_alu instid0(VALU_DEP_1) | instskip(NEXT) | instid1(VALU_DEP_1)
	v_fma_f64 v[14:15], v[164:165], v[16:17], 0
	v_fmac_f64_e32 v[14:15], v[162:163], v[10:11]
	s_delay_alu instid0(VALU_DEP_1) | instskip(NEXT) | instid1(VALU_DEP_1)
	v_fmac_f64_e32 v[14:15], v[136:137], v[12:13]
	v_fmac_f64_e32 v[14:15], v[134:135], v[6:7]
	s_delay_alu instid0(VALU_DEP_1) | instskip(NEXT) | instid1(VALU_DEP_1)
	v_fmac_f64_e32 v[14:15], v[130:131], v[8:9]
	;; [unrolled: 3-line block ×3, first 2 shown]
	v_add_f64_e64 v[14:15], v[38:39], -v[14:15]
	s_clause 0x1
	global_store_b128 v[18:19], v[10:13], off offset:16
	global_store_b128 v[18:19], v[14:17], off
	s_wait_xcnt 0x0
	s_and_not1_b32 exec_lo, exec_lo, s46
	s_cbranch_execz .LBB1_6
.LBB1_10:                               ;   Parent Loop BB1_7 Depth=1
                                        ; =>  This Inner Loop Header: Depth=2
	global_load_b64 v[158:159], v[152:153], off
	s_wait_loadcnt 0x0
	v_mad_nc_u64_u32 v[162:163], v158, 48, s[14:15]
	v_mul_lo_u32 v6, v159, 48
	v_mad_nc_u64_u32 v[164:165], v158, 48, s[18:19]
	v_lshlrev_b64_e32 v[156:157], 6, v[158:159]
	v_lshlrev_b64_e32 v[160:161], 9, v[158:159]
	s_delay_alu instid0(VALU_DEP_2) | instskip(NEXT) | instid1(VALU_DEP_2)
	v_add_nc_u64_e32 v[4:5], s[36:37], v[156:157]
	v_add_nc_u64_e32 v[10:11], s[38:39], v[160:161]
	v_dual_add_nc_u32 v163, v6, v163 :: v_dual_add_nc_u32 v165, v6, v165
	global_load_b64 v[2:3], v[162:163], off
	s_clause 0x3
	global_load_b128 v[94:97], v[4:5], off offset:48
	global_load_b128 v[114:117], v[4:5], off offset:32
	;; [unrolled: 1-line block ×3, first 2 shown]
	global_load_b128 v[142:145], v[4:5], off
	s_clause 0x11
	global_load_b128 v[126:129], v[10:11], off offset:48
	global_load_b128 v[130:133], v[10:11], off offset:32
	;; [unrolled: 1-line block ×3, first 2 shown]
	global_load_b128 v[38:41], v[10:11], off
	global_load_b128 v[110:113], v[10:11], off offset:112
	global_load_b128 v[118:121], v[10:11], off offset:96
	;; [unrolled: 1-line block ×7, first 2 shown]
	; meta instruction
	global_load_b128 v[34:37], v[10:11], off offset:128
	global_load_b128 v[82:85], v[10:11], off offset:240
	;; [unrolled: 1-line block ×7, first 2 shown]
	s_wait_loadcnt 0x16
	v_lshl_add_u64 v[12:13], v[2:3], 3, s[12:13]
	s_clause 0x3
	global_load_b128 v[78:81], v[10:11], off offset:272
	global_load_b128 v[26:29], v[10:11], off offset:256
	;; [unrolled: 1-line block ×4, first 2 shown]
	global_load_b64 v[168:169], v[164:165], off
	global_load_b64 v[166:167], v[12:13], off
	s_clause 0x9
	global_load_b128 v[66:69], v[10:11], off offset:336
	global_load_b128 v[22:25], v[10:11], off offset:320
	;; [unrolled: 1-line block ×9, first 2 shown]
	; meta instruction
	global_load_b128 v[10:13], v[10:11], off offset:448
	s_wait_loadcnt 0xb
	v_cmp_ne_u64_e32 vcc_lo, 0, v[168:169]
	s_wait_loadcnt 0xa
	v_cmp_lt_i64_e64 s0, -1, v[166:167]
	s_and_b32 s0, s0, vcc_lo
	s_wait_xcnt 0x0
	s_and_saveexec_b32 s47, s0
	s_cbranch_execz .LBB1_12
; %bb.11:                               ;   in Loop: Header=BB1_10 Depth=2
	v_lshlrev_b64_e32 v[184:185], 5, v[166:167]
	v_lshlrev_b64_e32 v[166:167], 8, v[166:167]
	s_delay_alu instid0(VALU_DEP_2) | instskip(SKIP_3) | instid1(VALU_DEP_1)
	v_add_nc_u64_e32 v[168:169], s[16:17], v[184:185]
	global_load_b64 v[168:169], v[168:169], off
	s_wait_loadcnt 0x0
	v_ashrrev_i32_e32 v148, 31, v169
	v_lshrrev_b32_e32 v148, 29, v148
	s_wait_xcnt 0x0
	s_delay_alu instid0(VALU_DEP_1) | instskip(SKIP_1) | instid1(VALU_DEP_2)
	v_add_nc_u64_e32 v[168:169], v[168:169], v[148:149]
	v_mov_b32_e32 v148, s21
	v_ashrrev_i64 v[168:169], 3, v[168:169]
	s_delay_alu instid0(VALU_DEP_1) | instskip(SKIP_1) | instid1(VALU_DEP_4)
	v_cmp_eq_u64_e32 vcc_lo, v[158:159], v[168:169]
	v_mov_b32_e32 v168, s20
	v_cndmask_b32_e32 v169, s17, v148, vcc_lo
	s_delay_alu instid0(VALU_DEP_2) | instskip(SKIP_1) | instid1(VALU_DEP_2)
	v_cndmask_b32_e32 v168, s16, v168, vcc_lo
	v_cndmask_b32_e64 v148, 0, 0x80, vcc_lo
	v_add_nc_u64_e32 v[176:177], v[168:169], v[184:185]
	s_clause 0x1
	global_load_b128 v[168:171], v[176:177], off
	global_load_b128 v[172:175], v[176:177], off offset:16
	s_wait_xcnt 0x0
	v_add_nc_u64_e32 v[176:177], s[22:23], v[148:149]
	v_mov_b32_e32 v148, s17
	s_delay_alu instid0(VALU_DEP_2) | instskip(NEXT) | instid1(VALU_DEP_1)
	v_add_nc_u64_e32 v[166:167], v[176:177], v[166:167]
	v_add_nc_u64_e32 v[208:209], s[26:27], v[166:167]
	global_load_b128 v[176:179], v[208:209], off
	s_wait_loadcnt 0x2
	v_lshl_add_u64 v[166:167], v[168:169], 3, s[24:25]
	v_lshl_add_u64 v[170:171], v[170:171], 3, s[24:25]
	s_wait_loadcnt 0x1
	v_lshl_add_u64 v[174:175], v[174:175], 3, s[24:25]
	global_load_b64 v[210:211], v[166:167], off
	global_load_b128 v[166:169], v[208:209], off offset:16
	global_load_b64 v[212:213], v[170:171], off
	s_wait_xcnt 0x0
	v_mov_b32_e32 v170, s16
	global_load_b128 v[180:183], v[208:209], off offset:32
	v_cndmask_b32_e32 v171, s21, v148, vcc_lo
	v_cndmask_b32_e32 v170, s20, v170, vcc_lo
	s_wait_loadcnt 0x2
	v_mul_f64_e32 v[166:167], v[146:147], v[166:167]
	s_delay_alu instid0(VALU_DEP_2)
	v_add_nc_u64_e32 v[214:215], v[170:171], v[184:185]
	v_lshl_add_u64 v[170:171], v[172:173], 3, s[24:25]
	global_load_b64 v[216:217], v[170:171], off
	global_load_b128 v[184:187], v[214:215], off
	global_load_b64 v[218:219], v[174:175], off
	s_clause 0x3
	global_load_b128 v[170:173], v[208:209], off offset:48
	global_load_b128 v[188:191], v[208:209], off offset:64
	;; [unrolled: 1-line block ×6, first 2 shown]
	s_wait_xcnt 0x6
	v_mul_f64_e32 v[174:175], v[146:147], v[176:177]
	v_mul_f64_e32 v[176:177], v[146:147], v[178:179]
	s_wait_loadcnt 0x9
	v_mul_f64_e32 v[178:179], v[146:147], v[182:183]
	s_delay_alu instid0(VALU_DEP_3) | instskip(NEXT) | instid1(VALU_DEP_1)
	v_fma_f64 v[174:175], v[174:175], v[210:211], 0
	v_fmac_f64_e32 v[174:175], v[176:177], v[212:213]
	v_mul_f64_e32 v[176:177], v[146:147], v[180:181]
	s_delay_alu instid0(VALU_DEP_1) | instskip(NEXT) | instid1(VALU_DEP_1)
	v_fma_f64 v[176:177], v[210:211], v[176:177], 0
	v_fmac_f64_e32 v[176:177], v[212:213], v[178:179]
	s_wait_loadcnt 0x8
	s_delay_alu instid0(VALU_DEP_4) | instskip(SKIP_2) | instid1(VALU_DEP_1)
	v_fmac_f64_e32 v[174:175], v[166:167], v[216:217]
	s_wait_loadcnt 0x7
	v_ashrrev_i32_e32 v148, 31, v185
	v_lshrrev_b32_e32 v148, 29, v148
	s_delay_alu instid0(VALU_DEP_1) | instskip(NEXT) | instid1(VALU_DEP_1)
	v_add_nc_u64_e32 v[166:167], v[184:185], v[148:149]
	v_and_b32_e32 v166, -8, v166
	s_delay_alu instid0(VALU_DEP_1) | instskip(NEXT) | instid1(VALU_DEP_1)
	v_sub_nc_u64_e32 v[166:167], v[184:185], v[166:167]
	v_cmp_eq_u64_e32 vcc_lo, 1, v[166:167]
	v_cmp_eq_u64_e64 s0, 2, v[166:167]
	v_cmp_eq_u64_e64 s1, 3, v[166:167]
	;; [unrolled: 1-line block ×6, first 2 shown]
	v_dual_cndmask_b32 v148, v143, v145, vcc_lo :: v_dual_cndmask_b32 v180, v142, v144, vcc_lo
	v_mul_f64_e32 v[168:169], v[146:147], v[168:169]
	v_cmp_eq_u64_e64 s6, 0, v[166:167]
	s_delay_alu instid0(VALU_DEP_3) | instskip(NEXT) | instid1(VALU_DEP_4)
	v_cndmask_b32_e64 v148, v148, v139, s0
	v_cndmask_b32_e64 v180, v180, v138, s0
	s_delay_alu instid0(VALU_DEP_2) | instskip(SKIP_4) | instid1(VALU_DEP_1)
	v_cndmask_b32_e64 v148, v148, v141, s1
	s_wait_loadcnt 0x6
	v_fmac_f64_e32 v[174:175], v[168:169], v[218:219]
	s_wait_loadcnt 0x5
	v_dual_mul_f64 v[168:169], v[146:147], v[170:171] :: v_dual_cndmask_b32 v170, v180, v140, s1
	v_dual_cndmask_b32 v148, v148, v115, s2 :: v_dual_cndmask_b32 v170, v170, v114, s2
	s_delay_alu instid0(VALU_DEP_1) | instskip(NEXT) | instid1(VALU_DEP_1)
	v_cndmask_b32_e64 v178, v170, v116, s3
	v_dual_cndmask_b32 v178, v178, v94, s4 :: v_dual_cndmask_b32 v148, v148, v117, s3
	s_delay_alu instid0(VALU_DEP_1) | instskip(SKIP_1) | instid1(VALU_DEP_2)
	v_cndmask_b32_e64 v178, v178, v96, s5
	s_wait_loadcnt 0x4
	v_dual_mul_f64 v[170:171], v[146:147], v[188:189] :: v_dual_cndmask_b32 v148, v148, v95, s4
	s_delay_alu instid0(VALU_DEP_1) | instskip(SKIP_1) | instid1(VALU_DEP_2)
	v_dual_cndmask_b32 v179, v148, v97, s5 :: v_dual_ashrrev_i32 v148, 31, v187
	v_fmac_f64_e32 v[176:177], v[216:217], v[168:169]
	v_dual_add_f64 v[174:175], v[178:179], -v[174:175] :: v_dual_lshrrev_b32 v148, 29, v148
	v_mul_f64_e32 v[172:173], v[146:147], v[172:173]
	s_wait_loadcnt 0x3
	v_mul_f64_e32 v[166:167], v[146:147], v[192:193]
	s_wait_loadcnt 0x2
	v_mul_f64_e32 v[180:181], v[146:147], v[196:197]
	v_mul_f64_e32 v[178:179], v[146:147], v[190:191]
	v_add_nc_u64_e32 v[168:169], v[186:187], v[148:149]
	s_delay_alu instid0(VALU_DEP_1) | instskip(NEXT) | instid1(VALU_DEP_1)
	v_and_b32_e32 v168, -8, v168
	v_sub_nc_u64_e32 v[168:169], v[186:187], v[168:169]
	v_fma_f64 v[170:171], v[210:211], v[170:171], 0
	s_delay_alu instid0(VALU_DEP_2)
	v_cmp_eq_u64_e64 s7, 1, v[168:169]
	v_cmp_eq_u64_e64 s8, 2, v[168:169]
	;; [unrolled: 1-line block ×3, first 2 shown]
	v_dual_cndmask_b32 v142, v142, v174, s6 :: v_dual_cndmask_b32 v143, v143, v175, s6
	v_dual_cndmask_b32 v145, v145, v175 :: v_dual_cndmask_b32 v144, v144, v174
	v_dual_cndmask_b32 v182, v139, v175, s0 :: v_dual_cndmask_b32 v183, v138, v174, s0
	v_fmac_f64_e32 v[176:177], v[218:219], v[172:173]
	s_delay_alu instid0(VALU_DEP_3) | instskip(SKIP_2) | instid1(VALU_DEP_3)
	v_dual_cndmask_b32 v138, v143, v145, s7 :: v_dual_cndmask_b32 v139, v142, v144, s7
	v_dual_cndmask_b32 v172, v141, v175, s1 :: v_dual_cndmask_b32 v173, v140, v174, s1
	v_cmp_eq_u64_e32 vcc_lo, 4, v[168:169]
	v_dual_cndmask_b32 v138, v138, v182, s8 :: v_dual_cndmask_b32 v184, v115, v175, s2
	s_delay_alu instid0(VALU_DEP_4) | instskip(SKIP_1) | instid1(VALU_DEP_3)
	v_dual_cndmask_b32 v139, v139, v183, s8 :: v_dual_cndmask_b32 v185, v114, v174, s2
	v_cmp_eq_u64_e64 s0, 5, v[168:169]
	v_cndmask_b32_e64 v114, v138, v172, s9
	v_cmp_eq_u64_e64 s1, 6, v[168:169]
	s_delay_alu instid0(VALU_DEP_4) | instskip(SKIP_2) | instid1(VALU_DEP_3)
	v_dual_cndmask_b32 v115, v139, v173, s9 :: v_dual_cndmask_b32 v187, v94, v174, s4
	v_fmac_f64_e32 v[170:171], v[212:213], v[178:179]
	v_dual_cndmask_b32 v178, v117, v175, s3 :: v_dual_cndmask_b32 v179, v116, v174, s3
	v_dual_cndmask_b32 v114, v114, v184 :: v_dual_cndmask_b32 v115, v115, v185
	v_cndmask_b32_e64 v186, v95, v175, s4
	v_cmp_eq_u64_e64 s2, 7, v[168:169]
	v_cndmask_b32_e64 v174, v96, v174, s5
	s_delay_alu instid0(VALU_DEP_4) | instskip(SKIP_3) | instid1(VALU_DEP_4)
	v_dual_cndmask_b32 v94, v114, v178, s0 :: v_dual_cndmask_b32 v95, v115, v179, s0
	v_cndmask_b32_e64 v175, v97, v175, s5
	v_mul_f64_e32 v[116:117], v[146:147], v[198:199]
	v_cmp_eq_u64_e64 s3, 0, v[168:169]
	v_dual_cndmask_b32 v94, v94, v186, s1 :: v_dual_cndmask_b32 v96, v95, v187, s1
	v_fma_f64 v[138:139], v[210:211], v[180:181], 0
	s_delay_alu instid0(VALU_DEP_2) | instskip(SKIP_2) | instid1(VALU_DEP_1)
	v_dual_cndmask_b32 v95, v94, v175, s2 :: v_dual_cndmask_b32 v94, v96, v174, s2
	s_wait_loadcnt 0x1
	v_ashrrev_i32_e32 v96, 31, v201
	v_dual_mul_f64 v[96:97], v[146:147], v[194:195] :: v_dual_lshrrev_b32 v148, 29, v96
	s_delay_alu instid0(VALU_DEP_1) | instskip(SKIP_1) | instid1(VALU_DEP_2)
	v_add_nc_u64_e32 v[114:115], v[200:201], v[148:149]
	v_fmac_f64_e32 v[170:171], v[216:217], v[166:167]
	v_and_b32_e32 v114, -8, v114
	s_delay_alu instid0(VALU_DEP_1) | instskip(SKIP_1) | instid1(VALU_DEP_2)
	v_sub_nc_u64_e32 v[114:115], v[200:201], v[114:115]
	v_fmac_f64_e32 v[138:139], v[212:213], v[116:117]
	v_cmp_eq_u64_e64 s5, 2, v[114:115]
	v_add_f64_e64 v[94:95], v[94:95], -v[176:177]
	v_cmp_eq_u64_e64 s4, 1, v[114:115]
	s_wait_loadcnt 0x0
	v_mul_f64_e32 v[140:141], v[146:147], v[204:205]
	v_cmp_eq_u64_e64 s6, 3, v[114:115]
	v_fmac_f64_e32 v[170:171], v[218:219], v[96:97]
	v_dual_cndmask_b32 v145, v145, v95, s7 :: v_dual_cndmask_b32 v143, v143, v95, s3
	v_cndmask_b32_e64 v166, v182, v95, s8
	v_fmac_f64_e32 v[138:139], v[216:217], v[140:141]
	s_delay_alu instid0(VALU_DEP_3) | instskip(NEXT) | instid1(VALU_DEP_1)
	v_cndmask_b32_e64 v148, v143, v145, s4
	v_cndmask_b32_e64 v96, v148, v166, s5
	v_dual_cndmask_b32 v142, v142, v94, s3 :: v_dual_cndmask_b32 v144, v144, v94, s7
	v_dual_cndmask_b32 v167, v183, v94, s8 :: v_dual_cndmask_b32 v169, v172, v95, s9
	v_cmp_eq_u64_e64 s3, 4, v[114:115]
	v_cmp_eq_u64_e64 s7, 5, v[114:115]
	s_delay_alu instid0(VALU_DEP_4) | instskip(SKIP_1) | instid1(VALU_DEP_2)
	v_dual_cndmask_b32 v168, v142, v144, s4 :: v_dual_cndmask_b32 v172, v173, v94, s9
	v_dual_cndmask_b32 v173, v185, v94, vcc_lo :: v_dual_cndmask_b32 v176, v178, v95, s0
	v_dual_cndmask_b32 v177, v179, v94, s0 :: v_dual_cndmask_b32 v97, v168, v167, s5
	v_cndmask_b32_e32 v168, v184, v95, vcc_lo
	v_cndmask_b32_e64 v96, v96, v169, s6
	v_cmp_eq_u64_e32 vcc_lo, 6, v[114:115]
	v_dual_cndmask_b32 v178, v186, v95, s1 :: v_dual_cndmask_b32 v179, v187, v94, s1
	v_cndmask_b32_e64 v97, v97, v172, s6
	s_delay_alu instid0(VALU_DEP_4) | instskip(SKIP_2) | instid1(VALU_DEP_3)
	v_cndmask_b32_e64 v96, v96, v168, s3
	v_cmp_eq_u64_e64 s0, 7, v[114:115]
	v_dual_cndmask_b32 v175, v175, v95, s2 :: v_dual_cndmask_b32 v174, v174, v94, s2
	v_dual_cndmask_b32 v97, v97, v173, s3 :: v_dual_cndmask_b32 v96, v96, v176, s7
	v_cmp_eq_u64_e64 s1, 0, v[114:115]
	s_delay_alu instid0(VALU_DEP_2) | instskip(NEXT) | instid1(VALU_DEP_1)
	v_dual_cndmask_b32 v97, v97, v177, s7 :: v_dual_cndmask_b32 v94, v96, v178, vcc_lo
	v_cndmask_b32_e32 v96, v97, v179, vcc_lo
	s_delay_alu instid0(VALU_DEP_1) | instskip(SKIP_1) | instid1(VALU_DEP_1)
	v_dual_cndmask_b32 v95, v94, v175, s0 :: v_dual_cndmask_b32 v94, v96, v174, s0
	v_ashrrev_i32_e32 v96, 31, v203
	v_dual_add_f64 v[94:95], v[94:95], -v[170:171] :: v_dual_lshrrev_b32 v148, 29, v96
	s_delay_alu instid0(VALU_DEP_1) | instskip(NEXT) | instid1(VALU_DEP_1)
	v_add_nc_u64_e32 v[116:117], v[202:203], v[148:149]
	v_and_b32_e32 v116, -8, v116
	s_delay_alu instid0(VALU_DEP_1) | instskip(NEXT) | instid1(VALU_DEP_1)
	v_sub_nc_u64_e32 v[116:117], v[202:203], v[116:117]
	v_cmp_eq_u64_e64 s2, 1, v[116:117]
	v_cmp_eq_u64_e64 s8, 2, v[116:117]
	v_dual_cndmask_b32 v148, v142, v94, s1 :: v_dual_cndmask_b32 v145, v145, v95, s4
	v_dual_cndmask_b32 v170, v143, v95, s1 :: v_dual_cndmask_b32 v144, v144, v94, s4
	v_mul_f64_e32 v[96:97], v[146:147], v[206:207]
	v_dual_cndmask_b32 v166, v166, v95, s5 :: v_dual_cndmask_b32 v167, v167, v94, s5
	s_delay_alu instid0(VALU_DEP_3) | instskip(NEXT) | instid1(VALU_DEP_4)
	v_dual_cndmask_b32 v114, v170, v145, s2 :: v_dual_cndmask_b32 v140, v169, v95, s6
	v_cndmask_b32_e64 v115, v148, v144, s2
	v_cmp_eq_u64_e64 s1, 3, v[116:117]
	v_cndmask_b32_e64 v169, v172, v94, s6
	v_cmp_eq_u64_e64 s4, 4, v[116:117]
	v_cmp_eq_u64_e64 s5, 6, v[116:117]
	v_cndmask_b32_e32 v171, v178, v95, vcc_lo
	v_fmac_f64_e32 v[138:139], v[218:219], v[96:97]
	v_dual_cndmask_b32 v96, v114, v166, s8 :: v_dual_cndmask_b32 v114, v168, v95, s3
	v_dual_cndmask_b32 v97, v115, v167, s8 :: v_dual_cndmask_b32 v141, v173, v94, s3
	v_cmp_eq_u64_e64 s3, 5, v[116:117]
	s_delay_alu instid0(VALU_DEP_3) | instskip(NEXT) | instid1(VALU_DEP_3)
	v_cndmask_b32_e64 v96, v96, v140, s1
	v_dual_cndmask_b32 v115, v176, v95, s7 :: v_dual_cndmask_b32 v97, v97, v169, s1
	v_dual_cndmask_b32 v168, v177, v94, s7 :: v_dual_cndmask_b32 v173, v175, v95, s0
	s_delay_alu instid0(VALU_DEP_2) | instskip(SKIP_2) | instid1(VALU_DEP_3)
	v_dual_cndmask_b32 v96, v96, v114, s4 :: v_dual_cndmask_b32 v97, v97, v141, s4
	v_cndmask_b32_e32 v172, v179, v94, vcc_lo
	v_cmp_eq_u64_e32 vcc_lo, 7, v[116:117]
	v_dual_cndmask_b32 v96, v96, v115, s3 :: v_dual_cndmask_b32 v174, v174, v94, s0
	s_delay_alu instid0(VALU_DEP_4) | instskip(SKIP_1) | instid1(VALU_DEP_2)
	v_cndmask_b32_e64 v97, v97, v168, s3
	v_cmp_eq_u64_e64 s0, 0, v[116:117]
	v_dual_cndmask_b32 v94, v96, v171, s5 :: v_dual_cndmask_b32 v96, v97, v172, s5
	s_delay_alu instid0(VALU_DEP_1) | instskip(NEXT) | instid1(VALU_DEP_1)
	v_dual_cndmask_b32 v95, v94, v173 :: v_dual_cndmask_b32 v94, v96, v174
	v_add_f64_e64 v[142:143], v[94:95], -v[138:139]
	s_delay_alu instid0(VALU_DEP_1)
	v_dual_cndmask_b32 v97, v173, v143 :: v_dual_cndmask_b32 v96, v174, v142
	v_dual_cndmask_b32 v95, v171, v143, s5 :: v_dual_cndmask_b32 v94, v172, v142, s5
	v_dual_cndmask_b32 v117, v115, v143, s3 :: v_dual_cndmask_b32 v116, v168, v142, s3
	;; [unrolled: 1-line block ×7, first 2 shown]
.LBB1_12:                               ;   in Loop: Header=BB1_10 Depth=2
	s_wait_xcnt 0x0
	s_or_b32 exec_lo, exec_lo, s47
	global_load_b64 v[166:167], v[162:163], off offset:8
	s_wait_loadcnt 0x0
	v_lshl_add_u64 v[168:169], v[166:167], 3, s[12:13]
	global_load_b64 v[170:171], v[164:165], off offset:8
	global_load_b64 v[166:167], v[168:169], off
	s_wait_loadcnt 0x1
	v_cmp_ne_u64_e32 vcc_lo, 0, v[170:171]
	s_wait_loadcnt 0x0
	v_cmp_lt_i64_e64 s0, -1, v[166:167]
	s_and_b32 s0, s0, vcc_lo
	s_wait_xcnt 0x0
	s_and_saveexec_b32 s7, s0
	s_cbranch_execz .LBB1_14
; %bb.13:                               ;   in Loop: Header=BB1_10 Depth=2
	v_lshlrev_b64_e32 v[184:185], 5, v[166:167]
	v_lshlrev_b64_e32 v[166:167], 8, v[166:167]
	v_mov_b32_e32 v170, s20
	s_delay_alu instid0(VALU_DEP_3) | instskip(SKIP_3) | instid1(VALU_DEP_1)
	v_add_nc_u64_e32 v[168:169], s[16:17], v[184:185]
	global_load_b64 v[168:169], v[168:169], off
	s_wait_loadcnt 0x0
	v_ashrrev_i32_e32 v148, 31, v169
	v_lshrrev_b32_e32 v148, 29, v148
	s_wait_xcnt 0x0
	s_delay_alu instid0(VALU_DEP_1) | instskip(NEXT) | instid1(VALU_DEP_1)
	v_add_nc_u64_e32 v[168:169], v[168:169], v[148:149]
	v_ashrrev_i64 v[168:169], 3, v[168:169]
	s_delay_alu instid0(VALU_DEP_1) | instskip(SKIP_1) | instid1(VALU_DEP_1)
	v_cmp_eq_u64_e32 vcc_lo, v[158:159], v[168:169]
	v_dual_mov_b32 v168, s21 :: v_dual_mov_b32 v148, s17
	v_cndmask_b32_e32 v169, s17, v168, vcc_lo
	v_cndmask_b32_e32 v168, s16, v170, vcc_lo
	s_delay_alu instid0(VALU_DEP_3) | instskip(SKIP_1) | instid1(VALU_DEP_3)
	v_cndmask_b32_e32 v187, s21, v148, vcc_lo
	v_cndmask_b32_e64 v148, 0, 0x80, vcc_lo
	v_add_nc_u64_e32 v[176:177], v[168:169], v[184:185]
	s_clause 0x1
	global_load_b128 v[168:171], v[176:177], off
	global_load_b128 v[172:175], v[176:177], off offset:16
	s_wait_xcnt 0x0
	v_add_nc_u64_e32 v[176:177], s[22:23], v[148:149]
	v_mov_b32_e32 v148, s16
	s_delay_alu instid0(VALU_DEP_2) | instskip(NEXT) | instid1(VALU_DEP_1)
	v_add_nc_u64_e32 v[166:167], v[176:177], v[166:167]
	v_add_nc_u64_e32 v[208:209], s[26:27], v[166:167]
	global_load_b128 v[176:179], v[208:209], off
	s_wait_loadcnt 0x2
	v_lshl_add_u64 v[166:167], v[168:169], 3, s[24:25]
	v_lshl_add_u64 v[170:171], v[170:171], 3, s[24:25]
	s_wait_loadcnt 0x1
	v_lshl_add_u64 v[174:175], v[174:175], 3, s[24:25]
	global_load_b64 v[210:211], v[166:167], off
	global_load_b128 v[166:169], v[208:209], off offset:16
	global_load_b64 v[212:213], v[170:171], off
	global_load_b128 v[180:183], v[208:209], off offset:32
	v_cndmask_b32_e32 v186, s20, v148, vcc_lo
	s_wait_xcnt 0x1
	v_lshl_add_u64 v[170:171], v[172:173], 3, s[24:25]
	global_load_b64 v[216:217], v[170:171], off
	s_wait_loadcnt 0x3
	v_mul_f64_e32 v[166:167], v[146:147], v[166:167]
	v_add_nc_u64_e32 v[214:215], v[186:187], v[184:185]
	global_load_b128 v[184:187], v[214:215], off
	global_load_b128 v[170:173], v[208:209], off offset:64
	global_load_b64 v[218:219], v[174:175], off
	s_clause 0x2
	global_load_b128 v[188:191], v[208:209], off offset:48
	global_load_b128 v[192:195], v[208:209], off offset:80
	;; [unrolled: 1-line block ×5, first 2 shown]
	s_wait_xcnt 0x5
	v_mul_f64_e32 v[174:175], v[146:147], v[176:177]
	v_mul_f64_e32 v[176:177], v[146:147], v[178:179]
	s_wait_loadcnt 0x9
	v_mul_f64_e32 v[178:179], v[146:147], v[182:183]
	s_delay_alu instid0(VALU_DEP_3) | instskip(NEXT) | instid1(VALU_DEP_1)
	v_fma_f64 v[174:175], v[174:175], v[210:211], 0
	v_fmac_f64_e32 v[174:175], v[176:177], v[212:213]
	s_wait_loadcnt 0x8
	s_delay_alu instid0(VALU_DEP_1) | instskip(SKIP_2) | instid1(VALU_DEP_1)
	v_fmac_f64_e32 v[174:175], v[166:167], v[216:217]
	s_wait_loadcnt 0x6
	v_dual_mul_f64 v[170:171], v[146:147], v[170:171] :: v_dual_ashrrev_i32 v148, 31, v185
	v_lshrrev_b32_e32 v148, 29, v148
	s_delay_alu instid0(VALU_DEP_1) | instskip(NEXT) | instid1(VALU_DEP_1)
	v_add_nc_u64_e32 v[166:167], v[184:185], v[148:149]
	v_and_b32_e32 v166, -8, v166
	s_delay_alu instid0(VALU_DEP_1) | instskip(SKIP_1) | instid1(VALU_DEP_2)
	v_sub_nc_u64_e32 v[166:167], v[184:185], v[166:167]
	v_fma_f64 v[170:171], v[210:211], v[170:171], 0
	v_cmp_eq_u64_e32 vcc_lo, 1, v[166:167]
	v_cmp_eq_u64_e64 s0, 2, v[166:167]
	v_cmp_eq_u64_e64 s1, 3, v[166:167]
	v_cmp_eq_u64_e64 s2, 4, v[166:167]
	v_cmp_eq_u64_e64 s3, 5, v[166:167]
	v_cmp_eq_u64_e64 s4, 6, v[166:167]
	v_cmp_eq_u64_e64 s5, 7, v[166:167]
	v_cndmask_b32_e32 v148, v143, v145, vcc_lo
	v_mul_f64_e32 v[176:177], v[146:147], v[180:181]
	v_cndmask_b32_e32 v180, v142, v144, vcc_lo
	v_mul_f64_e32 v[168:169], v[146:147], v[168:169]
	v_cmp_eq_u64_e64 s6, 0, v[166:167]
	v_cndmask_b32_e64 v148, v148, v139, s0
	s_delay_alu instid0(VALU_DEP_4) | instskip(SKIP_3) | instid1(VALU_DEP_2)
	v_cndmask_b32_e64 v180, v180, v138, s0
	v_fma_f64 v[176:177], v[210:211], v[176:177], 0
	s_wait_loadcnt 0x5
	v_fmac_f64_e32 v[174:175], v[168:169], v[218:219]
	v_fmac_f64_e32 v[176:177], v[212:213], v[178:179]
	v_cndmask_b32_e64 v178, v180, v140, s1
	s_delay_alu instid0(VALU_DEP_1) | instskip(SKIP_1) | instid1(VALU_DEP_1)
	v_dual_cndmask_b32 v148, v148, v141, s1 :: v_dual_cndmask_b32 v178, v178, v114, s2
	s_wait_loadcnt 0x4
	v_dual_mul_f64 v[168:169], v[146:147], v[188:189] :: v_dual_cndmask_b32 v148, v148, v115, s2
	s_delay_alu instid0(VALU_DEP_1) | instskip(NEXT) | instid1(VALU_DEP_1)
	v_dual_cndmask_b32 v178, v178, v116, s3 :: v_dual_cndmask_b32 v148, v148, v117, s3
	v_dual_cndmask_b32 v178, v178, v94, s4 :: v_dual_cndmask_b32 v148, v148, v95, s4
	s_delay_alu instid0(VALU_DEP_1) | instskip(SKIP_1) | instid1(VALU_DEP_1)
	v_dual_cndmask_b32 v178, v178, v96, s5 :: v_dual_cndmask_b32 v179, v148, v97, s5
	v_ashrrev_i32_e32 v148, 31, v187
	v_dual_add_f64 v[174:175], v[178:179], -v[174:175] :: v_dual_lshrrev_b32 v148, 29, v148
	v_mul_f64_e32 v[172:173], v[146:147], v[172:173]
	s_wait_loadcnt 0x2
	v_mul_f64_e32 v[180:181], v[146:147], v[196:197]
	v_fmac_f64_e32 v[176:177], v[216:217], v[168:169]
	v_add_nc_u64_e32 v[168:169], v[186:187], v[148:149]
	s_delay_alu instid0(VALU_DEP_1) | instskip(NEXT) | instid1(VALU_DEP_1)
	v_dual_mul_f64 v[178:179], v[146:147], v[190:191] :: v_dual_bitop2_b32 v168, -8, v168 bitop3:0x40
	v_sub_nc_u64_e32 v[166:167], v[186:187], v[168:169]
	v_dual_mul_f64 v[168:169], v[146:147], v[192:193] :: v_dual_cndmask_b32 v144, v144, v174, vcc_lo
	v_dual_cndmask_b32 v142, v142, v174, s6 :: v_dual_cndmask_b32 v143, v143, v175, s6
	s_delay_alu instid0(VALU_DEP_3)
	v_cmp_eq_u64_e64 s6, 1, v[166:167]
	v_cndmask_b32_e32 v145, v145, v175, vcc_lo
	v_cmp_eq_u64_e32 vcc_lo, 2, v[166:167]
	v_fmac_f64_e32 v[170:171], v[212:213], v[172:173]
	v_dual_cndmask_b32 v172, v139, v175, s0 :: v_dual_cndmask_b32 v173, v138, v174, s0
	v_cmp_eq_u64_e64 s0, 3, v[166:167]
	v_dual_cndmask_b32 v139, v143, v145, s6 :: v_dual_cndmask_b32 v138, v142, v144, s6
	v_cndmask_b32_e64 v182, v115, v175, s2
	v_fmac_f64_e32 v[176:177], v[218:219], v[178:179]
	s_delay_alu instid0(VALU_DEP_3) | instskip(NEXT) | instid1(VALU_DEP_4)
	v_dual_cndmask_b32 v178, v141, v175, s1 :: v_dual_cndmask_b32 v139, v139, v172, vcc_lo
	v_dual_cndmask_b32 v179, v140, v174, s1 :: v_dual_cndmask_b32 v138, v138, v173, vcc_lo
	v_cmp_eq_u64_e64 s1, 4, v[166:167]
	v_dual_cndmask_b32 v183, v114, v174, s2 :: v_dual_cndmask_b32 v184, v117, v175, s3
	s_delay_alu instid0(VALU_DEP_3) | instskip(SKIP_2) | instid1(VALU_DEP_3)
	v_dual_cndmask_b32 v115, v139, v178, s0 :: v_dual_cndmask_b32 v114, v138, v179, s0
	v_cmp_eq_u64_e64 s2, 5, v[166:167]
	v_dual_cndmask_b32 v185, v116, v174, s3 :: v_dual_cndmask_b32 v186, v95, v175, s4
	v_dual_cndmask_b32 v115, v115, v182, s1 :: v_dual_cndmask_b32 v114, v114, v183, s1
	v_cmp_eq_u64_e64 s3, 6, v[166:167]
	v_cndmask_b32_e64 v187, v94, v174, s4
	v_cmp_eq_u64_e64 s4, 7, v[166:167]
	s_delay_alu instid0(VALU_DEP_4) | instskip(SKIP_3) | instid1(VALU_DEP_3)
	v_dual_cndmask_b32 v95, v115, v184, s2 :: v_dual_cndmask_b32 v94, v114, v185, s2
	s_wait_loadcnt 0x1
	v_dual_cndmask_b32 v175, v97, v175, s5 :: v_dual_ashrrev_i32 v138, 31, v201
	v_fma_f64 v[114:115], v[210:211], v[180:181], 0
	v_dual_cndmask_b32 v95, v95, v186, s3 :: v_dual_cndmask_b32 v94, v94, v187, s3
	v_cndmask_b32_e64 v174, v96, v174, s5
	s_delay_alu instid0(VALU_DEP_4) | instskip(SKIP_1) | instid1(VALU_DEP_4)
	v_lshrrev_b32_e32 v148, 29, v138
	v_cmp_eq_u64_e64 s5, 0, v[166:167]
	v_cndmask_b32_e64 v95, v95, v175, s4
	v_fmac_f64_e32 v[170:171], v[216:217], v[168:169]
	v_cndmask_b32_e64 v94, v94, v174, s4
	v_add_nc_u64_e32 v[138:139], v[200:201], v[148:149]
	s_wait_loadcnt 0x0
	v_mul_f64_e32 v[140:141], v[146:147], v[204:205]
	s_delay_alu instid0(VALU_DEP_2) | instskip(NEXT) | instid1(VALU_DEP_1)
	v_dual_add_f64 v[94:95], v[94:95], -v[176:177] :: v_dual_bitop2_b32 v138, -8, v138 bitop3:0x40
	v_sub_nc_u64_e32 v[138:139], v[200:201], v[138:139]
	s_delay_alu instid0(VALU_DEP_2) | instskip(SKIP_1) | instid1(VALU_DEP_3)
	v_dual_cndmask_b32 v142, v142, v94, s5 :: v_dual_cndmask_b32 v145, v145, v95, s6
	v_dual_cndmask_b32 v143, v143, v95, s5 :: v_dual_cndmask_b32 v144, v144, v94, s6
	v_cmp_eq_u64_e64 s5, 1, v[138:139]
	v_cndmask_b32_e32 v166, v172, v95, vcc_lo
	v_cmp_eq_u64_e64 s6, 2, v[138:139]
	v_dual_cndmask_b32 v167, v173, v94, vcc_lo :: v_dual_cndmask_b32 v168, v178, v95, s0
	v_cmp_eq_u64_e32 vcc_lo, 3, v[138:139]
	v_mul_f64_e32 v[116:117], v[146:147], v[194:195]
	v_dual_cndmask_b32 v172, v182, v95, s1 :: v_dual_cndmask_b32 v173, v183, v94, s1
	v_cmp_eq_u64_e64 s1, 5, v[138:139]
	v_dual_cndmask_b32 v176, v184, v95, s2 :: v_dual_cndmask_b32 v177, v185, v94, s2
	v_cmp_eq_u64_e64 s2, 6, v[138:139]
	v_dual_cndmask_b32 v178, v186, v95, s3 :: v_dual_cndmask_b32 v175, v175, v95, s4
	v_fmac_f64_e32 v[170:171], v[218:219], v[116:117]
	v_ashrrev_i32_e32 v116, 31, v203
	s_delay_alu instid0(VALU_DEP_1) | instskip(NEXT) | instid1(VALU_DEP_1)
	v_dual_mul_f64 v[96:97], v[146:147], v[198:199] :: v_dual_lshrrev_b32 v148, 29, v116
	v_add_nc_u64_e32 v[116:117], v[202:203], v[148:149]
	s_delay_alu instid0(VALU_DEP_1) | instskip(NEXT) | instid1(VALU_DEP_1)
	v_and_b32_e32 v116, -8, v116
	v_sub_nc_u64_e32 v[116:117], v[202:203], v[116:117]
	s_delay_alu instid0(VALU_DEP_4) | instskip(SKIP_4) | instid1(VALU_DEP_4)
	v_fmac_f64_e32 v[114:115], v[212:213], v[96:97]
	v_dual_cndmask_b32 v96, v143, v145, s5 :: v_dual_cndmask_b32 v97, v142, v144, s5
	v_cndmask_b32_e64 v169, v179, v94, s0
	v_cmp_eq_u64_e64 s0, 4, v[138:139]
	v_cndmask_b32_e64 v179, v187, v94, s3
	v_dual_cndmask_b32 v96, v96, v166, s6 :: v_dual_cndmask_b32 v97, v97, v167, s6
	v_cmp_eq_u64_e64 s3, 7, v[138:139]
	s_delay_alu instid0(VALU_DEP_2) | instskip(NEXT) | instid1(VALU_DEP_1)
	v_dual_cndmask_b32 v96, v96, v168 :: v_dual_cndmask_b32 v97, v97, v169
	v_dual_cndmask_b32 v96, v96, v172, s0 :: v_dual_cndmask_b32 v97, v97, v173, s0
	s_delay_alu instid0(VALU_DEP_1) | instskip(NEXT) | instid1(VALU_DEP_1)
	v_dual_cndmask_b32 v96, v96, v176, s1 :: v_dual_cndmask_b32 v97, v97, v177, s1
	v_cndmask_b32_e64 v95, v96, v178, s2
	s_delay_alu instid0(VALU_DEP_2) | instskip(SKIP_2) | instid1(VALU_DEP_4)
	v_dual_cndmask_b32 v174, v174, v94, s4 :: v_dual_cndmask_b32 v94, v97, v179, s2
	v_mul_f64_e32 v[96:97], v[146:147], v[206:207]
	v_cmp_eq_u64_e64 s4, 0, v[138:139]
	v_cndmask_b32_e64 v95, v95, v175, s3
	v_fmac_f64_e32 v[114:115], v[216:217], v[140:141]
	v_cndmask_b32_e64 v94, v94, v174, s3
	s_delay_alu instid0(VALU_DEP_1) | instskip(NEXT) | instid1(VALU_DEP_3)
	v_add_f64_e64 v[94:95], v[94:95], -v[170:171]
	v_fmac_f64_e32 v[114:115], v[218:219], v[96:97]
	s_delay_alu instid0(VALU_DEP_2) | instskip(SKIP_2) | instid1(VALU_DEP_1)
	v_dual_cndmask_b32 v148, v142, v94, s4 :: v_dual_cndmask_b32 v170, v143, v95, s4
	v_cndmask_b32_e64 v144, v144, v94, s5
	v_cmp_eq_u64_e64 s4, 1, v[116:117]
	v_dual_cndmask_b32 v97, v148, v144, s4 :: v_dual_cndmask_b32 v145, v145, v95, s5
	v_cndmask_b32_e64 v138, v166, v95, s6
	v_cmp_eq_u64_e64 s5, 2, v[116:117]
	v_cndmask_b32_e64 v166, v167, v94, s6
	v_cmp_eq_u64_e64 s6, 3, v[116:117]
	v_dual_cndmask_b32 v96, v170, v145, s4 :: v_dual_cndmask_b32 v139, v168, v95, vcc_lo
	v_dual_cndmask_b32 v140, v169, v94, vcc_lo :: v_dual_cndmask_b32 v141, v172, v95, s0
	s_delay_alu instid0(VALU_DEP_4) | instskip(NEXT) | instid1(VALU_DEP_3)
	v_cndmask_b32_e64 v97, v97, v166, s5
	v_cndmask_b32_e64 v96, v96, v138, s5
	v_cmp_eq_u64_e32 vcc_lo, 4, v[116:117]
	v_cndmask_b32_e64 v167, v173, v94, s0
	v_cmp_eq_u64_e64 s0, 5, v[116:117]
	s_delay_alu instid0(VALU_DEP_4) | instskip(SKIP_2) | instid1(VALU_DEP_3)
	v_dual_cndmask_b32 v97, v97, v140, s6 :: v_dual_cndmask_b32 v96, v96, v139, s6
	v_dual_cndmask_b32 v168, v176, v95, s1 :: v_dual_cndmask_b32 v169, v177, v94, s1
	v_cmp_eq_u64_e64 s1, 6, v[116:117]
	v_dual_cndmask_b32 v97, v97, v167 :: v_dual_cndmask_b32 v96, v96, v141
	v_dual_cndmask_b32 v171, v178, v95, s2 :: v_dual_cndmask_b32 v172, v179, v94, s2
	v_cmp_eq_u64_e64 s2, 7, v[116:117]
	s_delay_alu instid0(VALU_DEP_3) | instskip(SKIP_1) | instid1(VALU_DEP_2)
	v_dual_cndmask_b32 v97, v97, v169, s0 :: v_dual_cndmask_b32 v96, v96, v168, s0
	v_cndmask_b32_e64 v173, v175, v95, s3
	v_dual_cndmask_b32 v95, v96, v171, s1 :: v_dual_cndmask_b32 v96, v174, v94, s3
	s_delay_alu instid0(VALU_DEP_3) | instskip(SKIP_1) | instid1(VALU_DEP_2)
	v_cndmask_b32_e64 v94, v97, v172, s1
	v_cmp_eq_u64_e64 s3, 0, v[116:117]
	v_dual_cndmask_b32 v95, v95, v173, s2 :: v_dual_cndmask_b32 v94, v94, v96, s2
	s_delay_alu instid0(VALU_DEP_1) | instskip(NEXT) | instid1(VALU_DEP_1)
	v_add_f64_e64 v[142:143], v[94:95], -v[114:115]
	v_dual_cndmask_b32 v97, v173, v143, s2 :: v_dual_cndmask_b32 v96, v96, v142, s2
	v_dual_cndmask_b32 v95, v171, v143, s1 :: v_dual_cndmask_b32 v94, v172, v142, s1
	;; [unrolled: 1-line block ×3, first 2 shown]
	v_dual_cndmask_b32 v115, v141, v143 :: v_dual_cndmask_b32 v114, v167, v142
	v_dual_cndmask_b32 v141, v139, v143, s6 :: v_dual_cndmask_b32 v140, v140, v142, s6
	v_dual_cndmask_b32 v139, v138, v143, s5 :: v_dual_cndmask_b32 v145, v145, v143, s4
	;; [unrolled: 1-line block ×4, first 2 shown]
.LBB1_14:                               ;   in Loop: Header=BB1_10 Depth=2
	s_wait_xcnt 0x0
	s_or_b32 exec_lo, exec_lo, s7
	global_load_b64 v[166:167], v[162:163], off offset:16
	s_wait_loadcnt 0x0
	v_lshl_add_u64 v[168:169], v[166:167], 3, s[12:13]
	global_load_b64 v[170:171], v[164:165], off offset:16
	global_load_b64 v[166:167], v[168:169], off
	s_wait_loadcnt 0x1
	v_cmp_ne_u64_e32 vcc_lo, 0, v[170:171]
	s_wait_loadcnt 0x0
	v_cmp_lt_i64_e64 s0, -1, v[166:167]
	s_and_b32 s0, s0, vcc_lo
	s_wait_xcnt 0x0
	s_and_saveexec_b32 s7, s0
	s_cbranch_execz .LBB1_16
; %bb.15:                               ;   in Loop: Header=BB1_10 Depth=2
	v_lshlrev_b64_e32 v[184:185], 5, v[166:167]
	v_lshlrev_b64_e32 v[166:167], 8, v[166:167]
	v_mov_b32_e32 v170, s20
	s_delay_alu instid0(VALU_DEP_3) | instskip(SKIP_3) | instid1(VALU_DEP_1)
	v_add_nc_u64_e32 v[168:169], s[16:17], v[184:185]
	global_load_b64 v[168:169], v[168:169], off
	s_wait_loadcnt 0x0
	v_ashrrev_i32_e32 v148, 31, v169
	v_lshrrev_b32_e32 v148, 29, v148
	s_wait_xcnt 0x0
	s_delay_alu instid0(VALU_DEP_1) | instskip(NEXT) | instid1(VALU_DEP_1)
	v_add_nc_u64_e32 v[168:169], v[168:169], v[148:149]
	v_ashrrev_i64 v[168:169], 3, v[168:169]
	s_delay_alu instid0(VALU_DEP_1) | instskip(SKIP_1) | instid1(VALU_DEP_1)
	v_cmp_eq_u64_e32 vcc_lo, v[158:159], v[168:169]
	v_dual_mov_b32 v168, s21 :: v_dual_mov_b32 v148, s17
	v_cndmask_b32_e32 v169, s17, v168, vcc_lo
	v_cndmask_b32_e32 v168, s16, v170, vcc_lo
	s_delay_alu instid0(VALU_DEP_3) | instskip(SKIP_1) | instid1(VALU_DEP_3)
	v_cndmask_b32_e32 v187, s21, v148, vcc_lo
	v_cndmask_b32_e64 v148, 0, 0x80, vcc_lo
	v_add_nc_u64_e32 v[176:177], v[168:169], v[184:185]
	s_clause 0x1
	global_load_b128 v[168:171], v[176:177], off
	global_load_b128 v[172:175], v[176:177], off offset:16
	s_wait_xcnt 0x0
	v_add_nc_u64_e32 v[176:177], s[22:23], v[148:149]
	v_mov_b32_e32 v148, s16
	s_delay_alu instid0(VALU_DEP_2) | instskip(NEXT) | instid1(VALU_DEP_1)
	v_add_nc_u64_e32 v[166:167], v[176:177], v[166:167]
	v_add_nc_u64_e32 v[208:209], s[26:27], v[166:167]
	global_load_b128 v[176:179], v[208:209], off
	s_wait_loadcnt 0x2
	v_lshl_add_u64 v[166:167], v[168:169], 3, s[24:25]
	v_lshl_add_u64 v[170:171], v[170:171], 3, s[24:25]
	s_wait_loadcnt 0x1
	v_lshl_add_u64 v[174:175], v[174:175], 3, s[24:25]
	global_load_b64 v[210:211], v[166:167], off
	global_load_b128 v[166:169], v[208:209], off offset:16
	global_load_b64 v[212:213], v[170:171], off
	global_load_b128 v[180:183], v[208:209], off offset:32
	v_cndmask_b32_e32 v186, s20, v148, vcc_lo
	s_wait_xcnt 0x1
	v_lshl_add_u64 v[170:171], v[172:173], 3, s[24:25]
	global_load_b64 v[216:217], v[170:171], off
	s_wait_loadcnt 0x3
	v_mul_f64_e32 v[166:167], v[146:147], v[166:167]
	v_add_nc_u64_e32 v[214:215], v[186:187], v[184:185]
	global_load_b128 v[184:187], v[214:215], off
	global_load_b128 v[170:173], v[208:209], off offset:64
	global_load_b64 v[218:219], v[174:175], off
	s_clause 0x2
	global_load_b128 v[188:191], v[208:209], off offset:48
	global_load_b128 v[192:195], v[208:209], off offset:80
	;; [unrolled: 1-line block ×5, first 2 shown]
	s_wait_xcnt 0x5
	v_mul_f64_e32 v[174:175], v[146:147], v[176:177]
	v_mul_f64_e32 v[176:177], v[146:147], v[178:179]
	s_wait_loadcnt 0x9
	v_mul_f64_e32 v[178:179], v[146:147], v[182:183]
	s_delay_alu instid0(VALU_DEP_3) | instskip(NEXT) | instid1(VALU_DEP_1)
	v_fma_f64 v[174:175], v[174:175], v[210:211], 0
	v_fmac_f64_e32 v[174:175], v[176:177], v[212:213]
	s_wait_loadcnt 0x8
	s_delay_alu instid0(VALU_DEP_1) | instskip(SKIP_2) | instid1(VALU_DEP_1)
	v_fmac_f64_e32 v[174:175], v[166:167], v[216:217]
	s_wait_loadcnt 0x6
	v_dual_mul_f64 v[170:171], v[146:147], v[170:171] :: v_dual_ashrrev_i32 v148, 31, v185
	v_lshrrev_b32_e32 v148, 29, v148
	s_delay_alu instid0(VALU_DEP_1) | instskip(NEXT) | instid1(VALU_DEP_1)
	v_add_nc_u64_e32 v[166:167], v[184:185], v[148:149]
	v_and_b32_e32 v166, -8, v166
	s_delay_alu instid0(VALU_DEP_1) | instskip(SKIP_1) | instid1(VALU_DEP_2)
	v_sub_nc_u64_e32 v[166:167], v[184:185], v[166:167]
	v_fma_f64 v[170:171], v[210:211], v[170:171], 0
	v_cmp_eq_u64_e32 vcc_lo, 1, v[166:167]
	v_cmp_eq_u64_e64 s0, 2, v[166:167]
	v_cmp_eq_u64_e64 s1, 3, v[166:167]
	;; [unrolled: 1-line block ×6, first 2 shown]
	v_cndmask_b32_e32 v148, v143, v145, vcc_lo
	v_mul_f64_e32 v[176:177], v[146:147], v[180:181]
	v_cndmask_b32_e32 v180, v142, v144, vcc_lo
	v_mul_f64_e32 v[168:169], v[146:147], v[168:169]
	v_cmp_eq_u64_e64 s6, 0, v[166:167]
	v_cndmask_b32_e64 v148, v148, v139, s0
	s_delay_alu instid0(VALU_DEP_4) | instskip(SKIP_3) | instid1(VALU_DEP_2)
	v_cndmask_b32_e64 v180, v180, v138, s0
	v_fma_f64 v[176:177], v[210:211], v[176:177], 0
	s_wait_loadcnt 0x5
	v_fmac_f64_e32 v[174:175], v[168:169], v[218:219]
	v_fmac_f64_e32 v[176:177], v[212:213], v[178:179]
	v_cndmask_b32_e64 v178, v180, v140, s1
	s_delay_alu instid0(VALU_DEP_1) | instskip(SKIP_1) | instid1(VALU_DEP_1)
	v_dual_cndmask_b32 v148, v148, v141, s1 :: v_dual_cndmask_b32 v178, v178, v114, s2
	s_wait_loadcnt 0x4
	v_dual_mul_f64 v[168:169], v[146:147], v[188:189] :: v_dual_cndmask_b32 v148, v148, v115, s2
	s_delay_alu instid0(VALU_DEP_1) | instskip(NEXT) | instid1(VALU_DEP_1)
	v_dual_cndmask_b32 v178, v178, v116, s3 :: v_dual_cndmask_b32 v148, v148, v117, s3
	v_dual_cndmask_b32 v178, v178, v94, s4 :: v_dual_cndmask_b32 v148, v148, v95, s4
	s_delay_alu instid0(VALU_DEP_1) | instskip(SKIP_1) | instid1(VALU_DEP_1)
	v_dual_cndmask_b32 v178, v178, v96, s5 :: v_dual_cndmask_b32 v179, v148, v97, s5
	v_ashrrev_i32_e32 v148, 31, v187
	v_dual_add_f64 v[174:175], v[178:179], -v[174:175] :: v_dual_lshrrev_b32 v148, 29, v148
	v_mul_f64_e32 v[172:173], v[146:147], v[172:173]
	s_wait_loadcnt 0x2
	v_mul_f64_e32 v[180:181], v[146:147], v[196:197]
	v_fmac_f64_e32 v[176:177], v[216:217], v[168:169]
	v_add_nc_u64_e32 v[168:169], v[186:187], v[148:149]
	s_delay_alu instid0(VALU_DEP_1) | instskip(NEXT) | instid1(VALU_DEP_1)
	v_dual_mul_f64 v[178:179], v[146:147], v[190:191] :: v_dual_bitop2_b32 v168, -8, v168 bitop3:0x40
	v_sub_nc_u64_e32 v[166:167], v[186:187], v[168:169]
	v_dual_mul_f64 v[168:169], v[146:147], v[192:193] :: v_dual_cndmask_b32 v144, v144, v174, vcc_lo
	v_dual_cndmask_b32 v142, v142, v174, s6 :: v_dual_cndmask_b32 v143, v143, v175, s6
	s_delay_alu instid0(VALU_DEP_3)
	v_cmp_eq_u64_e64 s6, 1, v[166:167]
	v_cndmask_b32_e32 v145, v145, v175, vcc_lo
	v_cmp_eq_u64_e32 vcc_lo, 2, v[166:167]
	v_fmac_f64_e32 v[170:171], v[212:213], v[172:173]
	v_dual_cndmask_b32 v172, v139, v175, s0 :: v_dual_cndmask_b32 v173, v138, v174, s0
	v_cmp_eq_u64_e64 s0, 3, v[166:167]
	v_dual_cndmask_b32 v139, v143, v145, s6 :: v_dual_cndmask_b32 v138, v142, v144, s6
	v_cndmask_b32_e64 v182, v115, v175, s2
	v_fmac_f64_e32 v[176:177], v[218:219], v[178:179]
	s_delay_alu instid0(VALU_DEP_3) | instskip(NEXT) | instid1(VALU_DEP_4)
	v_dual_cndmask_b32 v178, v141, v175, s1 :: v_dual_cndmask_b32 v139, v139, v172, vcc_lo
	v_dual_cndmask_b32 v179, v140, v174, s1 :: v_dual_cndmask_b32 v138, v138, v173, vcc_lo
	v_cmp_eq_u64_e64 s1, 4, v[166:167]
	v_dual_cndmask_b32 v183, v114, v174, s2 :: v_dual_cndmask_b32 v184, v117, v175, s3
	s_delay_alu instid0(VALU_DEP_3) | instskip(SKIP_2) | instid1(VALU_DEP_3)
	v_dual_cndmask_b32 v115, v139, v178, s0 :: v_dual_cndmask_b32 v114, v138, v179, s0
	v_cmp_eq_u64_e64 s2, 5, v[166:167]
	v_dual_cndmask_b32 v185, v116, v174, s3 :: v_dual_cndmask_b32 v186, v95, v175, s4
	v_dual_cndmask_b32 v115, v115, v182, s1 :: v_dual_cndmask_b32 v114, v114, v183, s1
	v_cmp_eq_u64_e64 s3, 6, v[166:167]
	v_cndmask_b32_e64 v187, v94, v174, s4
	v_cmp_eq_u64_e64 s4, 7, v[166:167]
	s_delay_alu instid0(VALU_DEP_4) | instskip(SKIP_3) | instid1(VALU_DEP_3)
	v_dual_cndmask_b32 v95, v115, v184, s2 :: v_dual_cndmask_b32 v94, v114, v185, s2
	s_wait_loadcnt 0x1
	v_dual_cndmask_b32 v175, v97, v175, s5 :: v_dual_ashrrev_i32 v138, 31, v201
	v_fma_f64 v[114:115], v[210:211], v[180:181], 0
	v_dual_cndmask_b32 v95, v95, v186, s3 :: v_dual_cndmask_b32 v94, v94, v187, s3
	v_cndmask_b32_e64 v174, v96, v174, s5
	s_delay_alu instid0(VALU_DEP_4) | instskip(SKIP_1) | instid1(VALU_DEP_4)
	v_lshrrev_b32_e32 v148, 29, v138
	v_cmp_eq_u64_e64 s5, 0, v[166:167]
	v_cndmask_b32_e64 v95, v95, v175, s4
	v_fmac_f64_e32 v[170:171], v[216:217], v[168:169]
	v_cndmask_b32_e64 v94, v94, v174, s4
	v_add_nc_u64_e32 v[138:139], v[200:201], v[148:149]
	s_wait_loadcnt 0x0
	v_mul_f64_e32 v[140:141], v[146:147], v[204:205]
	s_delay_alu instid0(VALU_DEP_2) | instskip(NEXT) | instid1(VALU_DEP_1)
	v_dual_add_f64 v[94:95], v[94:95], -v[176:177] :: v_dual_bitop2_b32 v138, -8, v138 bitop3:0x40
	v_sub_nc_u64_e32 v[138:139], v[200:201], v[138:139]
	s_delay_alu instid0(VALU_DEP_2) | instskip(SKIP_1) | instid1(VALU_DEP_3)
	v_dual_cndmask_b32 v142, v142, v94, s5 :: v_dual_cndmask_b32 v145, v145, v95, s6
	v_dual_cndmask_b32 v143, v143, v95, s5 :: v_dual_cndmask_b32 v144, v144, v94, s6
	v_cmp_eq_u64_e64 s5, 1, v[138:139]
	v_cndmask_b32_e32 v166, v172, v95, vcc_lo
	v_cmp_eq_u64_e64 s6, 2, v[138:139]
	v_dual_cndmask_b32 v167, v173, v94, vcc_lo :: v_dual_cndmask_b32 v168, v178, v95, s0
	v_cmp_eq_u64_e32 vcc_lo, 3, v[138:139]
	v_mul_f64_e32 v[116:117], v[146:147], v[194:195]
	v_dual_cndmask_b32 v172, v182, v95, s1 :: v_dual_cndmask_b32 v173, v183, v94, s1
	v_cmp_eq_u64_e64 s1, 5, v[138:139]
	v_dual_cndmask_b32 v176, v184, v95, s2 :: v_dual_cndmask_b32 v177, v185, v94, s2
	v_cmp_eq_u64_e64 s2, 6, v[138:139]
	v_dual_cndmask_b32 v178, v186, v95, s3 :: v_dual_cndmask_b32 v175, v175, v95, s4
	v_fmac_f64_e32 v[170:171], v[218:219], v[116:117]
	v_ashrrev_i32_e32 v116, 31, v203
	s_delay_alu instid0(VALU_DEP_1) | instskip(NEXT) | instid1(VALU_DEP_1)
	v_dual_mul_f64 v[96:97], v[146:147], v[198:199] :: v_dual_lshrrev_b32 v148, 29, v116
	v_add_nc_u64_e32 v[116:117], v[202:203], v[148:149]
	s_delay_alu instid0(VALU_DEP_1) | instskip(NEXT) | instid1(VALU_DEP_1)
	v_and_b32_e32 v116, -8, v116
	v_sub_nc_u64_e32 v[116:117], v[202:203], v[116:117]
	s_delay_alu instid0(VALU_DEP_4) | instskip(SKIP_4) | instid1(VALU_DEP_4)
	v_fmac_f64_e32 v[114:115], v[212:213], v[96:97]
	v_dual_cndmask_b32 v96, v143, v145, s5 :: v_dual_cndmask_b32 v97, v142, v144, s5
	v_cndmask_b32_e64 v169, v179, v94, s0
	v_cmp_eq_u64_e64 s0, 4, v[138:139]
	v_cndmask_b32_e64 v179, v187, v94, s3
	v_dual_cndmask_b32 v96, v96, v166, s6 :: v_dual_cndmask_b32 v97, v97, v167, s6
	v_cmp_eq_u64_e64 s3, 7, v[138:139]
	s_delay_alu instid0(VALU_DEP_2) | instskip(NEXT) | instid1(VALU_DEP_1)
	v_dual_cndmask_b32 v96, v96, v168 :: v_dual_cndmask_b32 v97, v97, v169
	v_dual_cndmask_b32 v96, v96, v172, s0 :: v_dual_cndmask_b32 v97, v97, v173, s0
	s_delay_alu instid0(VALU_DEP_1) | instskip(NEXT) | instid1(VALU_DEP_1)
	v_dual_cndmask_b32 v96, v96, v176, s1 :: v_dual_cndmask_b32 v97, v97, v177, s1
	v_cndmask_b32_e64 v95, v96, v178, s2
	s_delay_alu instid0(VALU_DEP_2) | instskip(SKIP_2) | instid1(VALU_DEP_4)
	v_dual_cndmask_b32 v174, v174, v94, s4 :: v_dual_cndmask_b32 v94, v97, v179, s2
	v_mul_f64_e32 v[96:97], v[146:147], v[206:207]
	v_cmp_eq_u64_e64 s4, 0, v[138:139]
	v_cndmask_b32_e64 v95, v95, v175, s3
	v_fmac_f64_e32 v[114:115], v[216:217], v[140:141]
	v_cndmask_b32_e64 v94, v94, v174, s3
	s_delay_alu instid0(VALU_DEP_1) | instskip(NEXT) | instid1(VALU_DEP_3)
	v_add_f64_e64 v[94:95], v[94:95], -v[170:171]
	v_fmac_f64_e32 v[114:115], v[218:219], v[96:97]
	s_delay_alu instid0(VALU_DEP_2) | instskip(SKIP_2) | instid1(VALU_DEP_1)
	v_dual_cndmask_b32 v148, v142, v94, s4 :: v_dual_cndmask_b32 v170, v143, v95, s4
	v_cndmask_b32_e64 v144, v144, v94, s5
	v_cmp_eq_u64_e64 s4, 1, v[116:117]
	v_dual_cndmask_b32 v97, v148, v144, s4 :: v_dual_cndmask_b32 v145, v145, v95, s5
	v_cndmask_b32_e64 v138, v166, v95, s6
	v_cmp_eq_u64_e64 s5, 2, v[116:117]
	v_cndmask_b32_e64 v166, v167, v94, s6
	v_cmp_eq_u64_e64 s6, 3, v[116:117]
	v_dual_cndmask_b32 v96, v170, v145, s4 :: v_dual_cndmask_b32 v139, v168, v95, vcc_lo
	v_dual_cndmask_b32 v140, v169, v94, vcc_lo :: v_dual_cndmask_b32 v141, v172, v95, s0
	s_delay_alu instid0(VALU_DEP_4) | instskip(NEXT) | instid1(VALU_DEP_3)
	v_cndmask_b32_e64 v97, v97, v166, s5
	v_cndmask_b32_e64 v96, v96, v138, s5
	v_cmp_eq_u64_e32 vcc_lo, 4, v[116:117]
	v_cndmask_b32_e64 v167, v173, v94, s0
	v_cmp_eq_u64_e64 s0, 5, v[116:117]
	s_delay_alu instid0(VALU_DEP_4) | instskip(SKIP_2) | instid1(VALU_DEP_3)
	v_dual_cndmask_b32 v97, v97, v140, s6 :: v_dual_cndmask_b32 v96, v96, v139, s6
	v_dual_cndmask_b32 v168, v176, v95, s1 :: v_dual_cndmask_b32 v169, v177, v94, s1
	v_cmp_eq_u64_e64 s1, 6, v[116:117]
	v_dual_cndmask_b32 v97, v97, v167 :: v_dual_cndmask_b32 v96, v96, v141
	v_dual_cndmask_b32 v171, v178, v95, s2 :: v_dual_cndmask_b32 v172, v179, v94, s2
	v_cmp_eq_u64_e64 s2, 7, v[116:117]
	s_delay_alu instid0(VALU_DEP_3) | instskip(SKIP_1) | instid1(VALU_DEP_2)
	v_dual_cndmask_b32 v97, v97, v169, s0 :: v_dual_cndmask_b32 v96, v96, v168, s0
	v_cndmask_b32_e64 v173, v175, v95, s3
	v_dual_cndmask_b32 v95, v96, v171, s1 :: v_dual_cndmask_b32 v96, v174, v94, s3
	s_delay_alu instid0(VALU_DEP_3) | instskip(SKIP_1) | instid1(VALU_DEP_2)
	v_cndmask_b32_e64 v94, v97, v172, s1
	v_cmp_eq_u64_e64 s3, 0, v[116:117]
	v_dual_cndmask_b32 v95, v95, v173, s2 :: v_dual_cndmask_b32 v94, v94, v96, s2
	s_delay_alu instid0(VALU_DEP_1) | instskip(NEXT) | instid1(VALU_DEP_1)
	v_add_f64_e64 v[142:143], v[94:95], -v[114:115]
	v_dual_cndmask_b32 v97, v173, v143, s2 :: v_dual_cndmask_b32 v96, v96, v142, s2
	v_dual_cndmask_b32 v95, v171, v143, s1 :: v_dual_cndmask_b32 v94, v172, v142, s1
	;; [unrolled: 1-line block ×3, first 2 shown]
	v_dual_cndmask_b32 v115, v141, v143 :: v_dual_cndmask_b32 v114, v167, v142
	v_dual_cndmask_b32 v141, v139, v143, s6 :: v_dual_cndmask_b32 v140, v140, v142, s6
	v_dual_cndmask_b32 v139, v138, v143, s5 :: v_dual_cndmask_b32 v145, v145, v143, s4
	;; [unrolled: 1-line block ×4, first 2 shown]
.LBB1_16:                               ;   in Loop: Header=BB1_10 Depth=2
	s_wait_xcnt 0x0
	s_or_b32 exec_lo, exec_lo, s7
	global_load_b64 v[166:167], v[162:163], off offset:24
	s_wait_loadcnt 0x0
	v_lshl_add_u64 v[168:169], v[166:167], 3, s[12:13]
	global_load_b64 v[170:171], v[164:165], off offset:24
	global_load_b64 v[166:167], v[168:169], off
	s_wait_loadcnt 0x1
	v_cmp_ne_u64_e32 vcc_lo, 0, v[170:171]
	s_wait_loadcnt 0x0
	v_cmp_lt_i64_e64 s0, -1, v[166:167]
	s_and_b32 s0, s0, vcc_lo
	s_wait_xcnt 0x0
	s_and_saveexec_b32 s7, s0
	s_cbranch_execz .LBB1_18
; %bb.17:                               ;   in Loop: Header=BB1_10 Depth=2
	v_lshlrev_b64_e32 v[184:185], 5, v[166:167]
	v_lshlrev_b64_e32 v[166:167], 8, v[166:167]
	v_mov_b32_e32 v170, s20
	s_delay_alu instid0(VALU_DEP_3) | instskip(SKIP_3) | instid1(VALU_DEP_1)
	v_add_nc_u64_e32 v[168:169], s[16:17], v[184:185]
	global_load_b64 v[168:169], v[168:169], off
	s_wait_loadcnt 0x0
	v_ashrrev_i32_e32 v148, 31, v169
	v_lshrrev_b32_e32 v148, 29, v148
	s_wait_xcnt 0x0
	s_delay_alu instid0(VALU_DEP_1) | instskip(NEXT) | instid1(VALU_DEP_1)
	v_add_nc_u64_e32 v[168:169], v[168:169], v[148:149]
	v_ashrrev_i64 v[168:169], 3, v[168:169]
	s_delay_alu instid0(VALU_DEP_1) | instskip(SKIP_1) | instid1(VALU_DEP_1)
	v_cmp_eq_u64_e32 vcc_lo, v[158:159], v[168:169]
	v_dual_mov_b32 v168, s21 :: v_dual_mov_b32 v148, s17
	v_cndmask_b32_e32 v169, s17, v168, vcc_lo
	v_cndmask_b32_e32 v168, s16, v170, vcc_lo
	s_delay_alu instid0(VALU_DEP_3) | instskip(SKIP_1) | instid1(VALU_DEP_3)
	v_cndmask_b32_e32 v187, s21, v148, vcc_lo
	v_cndmask_b32_e64 v148, 0, 0x80, vcc_lo
	v_add_nc_u64_e32 v[176:177], v[168:169], v[184:185]
	s_clause 0x1
	global_load_b128 v[168:171], v[176:177], off
	global_load_b128 v[172:175], v[176:177], off offset:16
	s_wait_xcnt 0x0
	v_add_nc_u64_e32 v[176:177], s[22:23], v[148:149]
	v_mov_b32_e32 v148, s16
	s_delay_alu instid0(VALU_DEP_2) | instskip(NEXT) | instid1(VALU_DEP_1)
	v_add_nc_u64_e32 v[166:167], v[176:177], v[166:167]
	v_add_nc_u64_e32 v[208:209], s[26:27], v[166:167]
	global_load_b128 v[176:179], v[208:209], off
	s_wait_loadcnt 0x2
	v_lshl_add_u64 v[166:167], v[168:169], 3, s[24:25]
	v_lshl_add_u64 v[170:171], v[170:171], 3, s[24:25]
	s_wait_loadcnt 0x1
	v_lshl_add_u64 v[174:175], v[174:175], 3, s[24:25]
	global_load_b64 v[210:211], v[166:167], off
	global_load_b128 v[166:169], v[208:209], off offset:16
	global_load_b64 v[212:213], v[170:171], off
	global_load_b128 v[180:183], v[208:209], off offset:32
	v_cndmask_b32_e32 v186, s20, v148, vcc_lo
	s_wait_xcnt 0x1
	v_lshl_add_u64 v[170:171], v[172:173], 3, s[24:25]
	global_load_b64 v[216:217], v[170:171], off
	s_wait_loadcnt 0x3
	v_mul_f64_e32 v[166:167], v[146:147], v[166:167]
	v_add_nc_u64_e32 v[214:215], v[186:187], v[184:185]
	global_load_b128 v[184:187], v[214:215], off
	global_load_b128 v[170:173], v[208:209], off offset:64
	global_load_b64 v[218:219], v[174:175], off
	s_clause 0x2
	global_load_b128 v[188:191], v[208:209], off offset:48
	global_load_b128 v[192:195], v[208:209], off offset:80
	;; [unrolled: 1-line block ×5, first 2 shown]
	s_wait_xcnt 0x5
	v_mul_f64_e32 v[174:175], v[146:147], v[176:177]
	v_mul_f64_e32 v[176:177], v[146:147], v[178:179]
	s_wait_loadcnt 0x9
	v_mul_f64_e32 v[178:179], v[146:147], v[182:183]
	s_delay_alu instid0(VALU_DEP_3) | instskip(NEXT) | instid1(VALU_DEP_1)
	v_fma_f64 v[174:175], v[174:175], v[210:211], 0
	v_fmac_f64_e32 v[174:175], v[176:177], v[212:213]
	s_wait_loadcnt 0x8
	s_delay_alu instid0(VALU_DEP_1) | instskip(SKIP_2) | instid1(VALU_DEP_1)
	v_fmac_f64_e32 v[174:175], v[166:167], v[216:217]
	s_wait_loadcnt 0x6
	v_dual_mul_f64 v[170:171], v[146:147], v[170:171] :: v_dual_ashrrev_i32 v148, 31, v185
	v_lshrrev_b32_e32 v148, 29, v148
	s_delay_alu instid0(VALU_DEP_1) | instskip(NEXT) | instid1(VALU_DEP_1)
	v_add_nc_u64_e32 v[166:167], v[184:185], v[148:149]
	v_and_b32_e32 v166, -8, v166
	s_delay_alu instid0(VALU_DEP_1) | instskip(SKIP_1) | instid1(VALU_DEP_2)
	v_sub_nc_u64_e32 v[166:167], v[184:185], v[166:167]
	v_fma_f64 v[170:171], v[210:211], v[170:171], 0
	v_cmp_eq_u64_e32 vcc_lo, 1, v[166:167]
	v_cmp_eq_u64_e64 s0, 2, v[166:167]
	v_cmp_eq_u64_e64 s1, 3, v[166:167]
	;; [unrolled: 1-line block ×6, first 2 shown]
	v_cndmask_b32_e32 v148, v143, v145, vcc_lo
	v_mul_f64_e32 v[176:177], v[146:147], v[180:181]
	v_cndmask_b32_e32 v180, v142, v144, vcc_lo
	v_mul_f64_e32 v[168:169], v[146:147], v[168:169]
	v_cmp_eq_u64_e64 s6, 0, v[166:167]
	v_cndmask_b32_e64 v148, v148, v139, s0
	s_delay_alu instid0(VALU_DEP_4) | instskip(SKIP_3) | instid1(VALU_DEP_2)
	v_cndmask_b32_e64 v180, v180, v138, s0
	v_fma_f64 v[176:177], v[210:211], v[176:177], 0
	s_wait_loadcnt 0x5
	v_fmac_f64_e32 v[174:175], v[168:169], v[218:219]
	v_fmac_f64_e32 v[176:177], v[212:213], v[178:179]
	v_cndmask_b32_e64 v178, v180, v140, s1
	s_delay_alu instid0(VALU_DEP_1) | instskip(SKIP_1) | instid1(VALU_DEP_1)
	v_dual_cndmask_b32 v148, v148, v141, s1 :: v_dual_cndmask_b32 v178, v178, v114, s2
	s_wait_loadcnt 0x4
	v_dual_mul_f64 v[168:169], v[146:147], v[188:189] :: v_dual_cndmask_b32 v148, v148, v115, s2
	s_delay_alu instid0(VALU_DEP_1) | instskip(NEXT) | instid1(VALU_DEP_1)
	v_dual_cndmask_b32 v178, v178, v116, s3 :: v_dual_cndmask_b32 v148, v148, v117, s3
	v_dual_cndmask_b32 v178, v178, v94, s4 :: v_dual_cndmask_b32 v148, v148, v95, s4
	s_delay_alu instid0(VALU_DEP_1) | instskip(SKIP_1) | instid1(VALU_DEP_1)
	v_dual_cndmask_b32 v178, v178, v96, s5 :: v_dual_cndmask_b32 v179, v148, v97, s5
	v_ashrrev_i32_e32 v148, 31, v187
	v_dual_add_f64 v[174:175], v[178:179], -v[174:175] :: v_dual_lshrrev_b32 v148, 29, v148
	v_mul_f64_e32 v[172:173], v[146:147], v[172:173]
	s_wait_loadcnt 0x2
	v_mul_f64_e32 v[180:181], v[146:147], v[196:197]
	v_fmac_f64_e32 v[176:177], v[216:217], v[168:169]
	v_add_nc_u64_e32 v[168:169], v[186:187], v[148:149]
	s_delay_alu instid0(VALU_DEP_1) | instskip(NEXT) | instid1(VALU_DEP_1)
	v_dual_mul_f64 v[178:179], v[146:147], v[190:191] :: v_dual_bitop2_b32 v168, -8, v168 bitop3:0x40
	v_sub_nc_u64_e32 v[166:167], v[186:187], v[168:169]
	v_dual_mul_f64 v[168:169], v[146:147], v[192:193] :: v_dual_cndmask_b32 v144, v144, v174, vcc_lo
	v_dual_cndmask_b32 v142, v142, v174, s6 :: v_dual_cndmask_b32 v143, v143, v175, s6
	s_delay_alu instid0(VALU_DEP_3)
	v_cmp_eq_u64_e64 s6, 1, v[166:167]
	v_cndmask_b32_e32 v145, v145, v175, vcc_lo
	v_cmp_eq_u64_e32 vcc_lo, 2, v[166:167]
	v_fmac_f64_e32 v[170:171], v[212:213], v[172:173]
	v_dual_cndmask_b32 v172, v139, v175, s0 :: v_dual_cndmask_b32 v173, v138, v174, s0
	v_cmp_eq_u64_e64 s0, 3, v[166:167]
	v_dual_cndmask_b32 v139, v143, v145, s6 :: v_dual_cndmask_b32 v138, v142, v144, s6
	v_cndmask_b32_e64 v182, v115, v175, s2
	v_fmac_f64_e32 v[176:177], v[218:219], v[178:179]
	s_delay_alu instid0(VALU_DEP_3) | instskip(NEXT) | instid1(VALU_DEP_4)
	v_dual_cndmask_b32 v178, v141, v175, s1 :: v_dual_cndmask_b32 v139, v139, v172, vcc_lo
	v_dual_cndmask_b32 v179, v140, v174, s1 :: v_dual_cndmask_b32 v138, v138, v173, vcc_lo
	v_cmp_eq_u64_e64 s1, 4, v[166:167]
	v_dual_cndmask_b32 v183, v114, v174, s2 :: v_dual_cndmask_b32 v184, v117, v175, s3
	s_delay_alu instid0(VALU_DEP_3) | instskip(SKIP_2) | instid1(VALU_DEP_3)
	v_dual_cndmask_b32 v115, v139, v178, s0 :: v_dual_cndmask_b32 v114, v138, v179, s0
	v_cmp_eq_u64_e64 s2, 5, v[166:167]
	v_dual_cndmask_b32 v185, v116, v174, s3 :: v_dual_cndmask_b32 v186, v95, v175, s4
	v_dual_cndmask_b32 v115, v115, v182, s1 :: v_dual_cndmask_b32 v114, v114, v183, s1
	v_cmp_eq_u64_e64 s3, 6, v[166:167]
	v_cndmask_b32_e64 v187, v94, v174, s4
	v_cmp_eq_u64_e64 s4, 7, v[166:167]
	s_delay_alu instid0(VALU_DEP_4) | instskip(SKIP_3) | instid1(VALU_DEP_3)
	v_dual_cndmask_b32 v95, v115, v184, s2 :: v_dual_cndmask_b32 v94, v114, v185, s2
	s_wait_loadcnt 0x1
	v_dual_cndmask_b32 v175, v97, v175, s5 :: v_dual_ashrrev_i32 v138, 31, v201
	v_fma_f64 v[114:115], v[210:211], v[180:181], 0
	v_dual_cndmask_b32 v95, v95, v186, s3 :: v_dual_cndmask_b32 v94, v94, v187, s3
	v_cndmask_b32_e64 v174, v96, v174, s5
	s_delay_alu instid0(VALU_DEP_4) | instskip(SKIP_1) | instid1(VALU_DEP_4)
	v_lshrrev_b32_e32 v148, 29, v138
	v_cmp_eq_u64_e64 s5, 0, v[166:167]
	v_cndmask_b32_e64 v95, v95, v175, s4
	v_fmac_f64_e32 v[170:171], v[216:217], v[168:169]
	v_cndmask_b32_e64 v94, v94, v174, s4
	v_add_nc_u64_e32 v[138:139], v[200:201], v[148:149]
	s_wait_loadcnt 0x0
	v_mul_f64_e32 v[140:141], v[146:147], v[204:205]
	s_delay_alu instid0(VALU_DEP_2) | instskip(NEXT) | instid1(VALU_DEP_1)
	v_dual_add_f64 v[94:95], v[94:95], -v[176:177] :: v_dual_bitop2_b32 v138, -8, v138 bitop3:0x40
	v_sub_nc_u64_e32 v[138:139], v[200:201], v[138:139]
	s_delay_alu instid0(VALU_DEP_2) | instskip(SKIP_1) | instid1(VALU_DEP_3)
	v_dual_cndmask_b32 v142, v142, v94, s5 :: v_dual_cndmask_b32 v145, v145, v95, s6
	v_dual_cndmask_b32 v143, v143, v95, s5 :: v_dual_cndmask_b32 v144, v144, v94, s6
	v_cmp_eq_u64_e64 s5, 1, v[138:139]
	v_cndmask_b32_e32 v166, v172, v95, vcc_lo
	v_cmp_eq_u64_e64 s6, 2, v[138:139]
	v_dual_cndmask_b32 v167, v173, v94, vcc_lo :: v_dual_cndmask_b32 v168, v178, v95, s0
	v_cmp_eq_u64_e32 vcc_lo, 3, v[138:139]
	v_mul_f64_e32 v[116:117], v[146:147], v[194:195]
	v_dual_cndmask_b32 v172, v182, v95, s1 :: v_dual_cndmask_b32 v173, v183, v94, s1
	v_cmp_eq_u64_e64 s1, 5, v[138:139]
	v_dual_cndmask_b32 v176, v184, v95, s2 :: v_dual_cndmask_b32 v177, v185, v94, s2
	v_cmp_eq_u64_e64 s2, 6, v[138:139]
	v_dual_cndmask_b32 v178, v186, v95, s3 :: v_dual_cndmask_b32 v175, v175, v95, s4
	v_fmac_f64_e32 v[170:171], v[218:219], v[116:117]
	v_ashrrev_i32_e32 v116, 31, v203
	s_delay_alu instid0(VALU_DEP_1) | instskip(NEXT) | instid1(VALU_DEP_1)
	v_dual_mul_f64 v[96:97], v[146:147], v[198:199] :: v_dual_lshrrev_b32 v148, 29, v116
	v_add_nc_u64_e32 v[116:117], v[202:203], v[148:149]
	s_delay_alu instid0(VALU_DEP_1) | instskip(NEXT) | instid1(VALU_DEP_1)
	v_and_b32_e32 v116, -8, v116
	v_sub_nc_u64_e32 v[116:117], v[202:203], v[116:117]
	s_delay_alu instid0(VALU_DEP_4) | instskip(SKIP_4) | instid1(VALU_DEP_4)
	v_fmac_f64_e32 v[114:115], v[212:213], v[96:97]
	v_dual_cndmask_b32 v96, v143, v145, s5 :: v_dual_cndmask_b32 v97, v142, v144, s5
	v_cndmask_b32_e64 v169, v179, v94, s0
	v_cmp_eq_u64_e64 s0, 4, v[138:139]
	v_cndmask_b32_e64 v179, v187, v94, s3
	v_dual_cndmask_b32 v96, v96, v166, s6 :: v_dual_cndmask_b32 v97, v97, v167, s6
	v_cmp_eq_u64_e64 s3, 7, v[138:139]
	s_delay_alu instid0(VALU_DEP_2) | instskip(NEXT) | instid1(VALU_DEP_1)
	v_dual_cndmask_b32 v96, v96, v168 :: v_dual_cndmask_b32 v97, v97, v169
	v_dual_cndmask_b32 v96, v96, v172, s0 :: v_dual_cndmask_b32 v97, v97, v173, s0
	s_delay_alu instid0(VALU_DEP_1) | instskip(NEXT) | instid1(VALU_DEP_1)
	v_dual_cndmask_b32 v96, v96, v176, s1 :: v_dual_cndmask_b32 v97, v97, v177, s1
	v_cndmask_b32_e64 v95, v96, v178, s2
	s_delay_alu instid0(VALU_DEP_2) | instskip(SKIP_2) | instid1(VALU_DEP_4)
	v_dual_cndmask_b32 v174, v174, v94, s4 :: v_dual_cndmask_b32 v94, v97, v179, s2
	v_mul_f64_e32 v[96:97], v[146:147], v[206:207]
	v_cmp_eq_u64_e64 s4, 0, v[138:139]
	v_cndmask_b32_e64 v95, v95, v175, s3
	v_fmac_f64_e32 v[114:115], v[216:217], v[140:141]
	v_cndmask_b32_e64 v94, v94, v174, s3
	s_delay_alu instid0(VALU_DEP_1) | instskip(NEXT) | instid1(VALU_DEP_3)
	v_add_f64_e64 v[94:95], v[94:95], -v[170:171]
	v_fmac_f64_e32 v[114:115], v[218:219], v[96:97]
	s_delay_alu instid0(VALU_DEP_2) | instskip(SKIP_2) | instid1(VALU_DEP_1)
	v_dual_cndmask_b32 v148, v142, v94, s4 :: v_dual_cndmask_b32 v170, v143, v95, s4
	v_cndmask_b32_e64 v144, v144, v94, s5
	v_cmp_eq_u64_e64 s4, 1, v[116:117]
	v_dual_cndmask_b32 v97, v148, v144, s4 :: v_dual_cndmask_b32 v145, v145, v95, s5
	v_cndmask_b32_e64 v138, v166, v95, s6
	v_cmp_eq_u64_e64 s5, 2, v[116:117]
	v_cndmask_b32_e64 v166, v167, v94, s6
	v_cmp_eq_u64_e64 s6, 3, v[116:117]
	v_dual_cndmask_b32 v96, v170, v145, s4 :: v_dual_cndmask_b32 v139, v168, v95, vcc_lo
	v_dual_cndmask_b32 v140, v169, v94, vcc_lo :: v_dual_cndmask_b32 v141, v172, v95, s0
	s_delay_alu instid0(VALU_DEP_4) | instskip(NEXT) | instid1(VALU_DEP_3)
	v_cndmask_b32_e64 v97, v97, v166, s5
	v_cndmask_b32_e64 v96, v96, v138, s5
	v_cmp_eq_u64_e32 vcc_lo, 4, v[116:117]
	v_cndmask_b32_e64 v167, v173, v94, s0
	v_cmp_eq_u64_e64 s0, 5, v[116:117]
	s_delay_alu instid0(VALU_DEP_4) | instskip(SKIP_2) | instid1(VALU_DEP_3)
	v_dual_cndmask_b32 v97, v97, v140, s6 :: v_dual_cndmask_b32 v96, v96, v139, s6
	v_dual_cndmask_b32 v168, v176, v95, s1 :: v_dual_cndmask_b32 v169, v177, v94, s1
	v_cmp_eq_u64_e64 s1, 6, v[116:117]
	v_dual_cndmask_b32 v97, v97, v167 :: v_dual_cndmask_b32 v96, v96, v141
	v_dual_cndmask_b32 v171, v178, v95, s2 :: v_dual_cndmask_b32 v172, v179, v94, s2
	v_cmp_eq_u64_e64 s2, 7, v[116:117]
	s_delay_alu instid0(VALU_DEP_3) | instskip(SKIP_1) | instid1(VALU_DEP_2)
	v_dual_cndmask_b32 v97, v97, v169, s0 :: v_dual_cndmask_b32 v96, v96, v168, s0
	v_cndmask_b32_e64 v173, v175, v95, s3
	v_dual_cndmask_b32 v95, v96, v171, s1 :: v_dual_cndmask_b32 v96, v174, v94, s3
	s_delay_alu instid0(VALU_DEP_3) | instskip(SKIP_1) | instid1(VALU_DEP_2)
	v_cndmask_b32_e64 v94, v97, v172, s1
	v_cmp_eq_u64_e64 s3, 0, v[116:117]
	v_dual_cndmask_b32 v95, v95, v173, s2 :: v_dual_cndmask_b32 v94, v94, v96, s2
	s_delay_alu instid0(VALU_DEP_1) | instskip(NEXT) | instid1(VALU_DEP_1)
	v_add_f64_e64 v[142:143], v[94:95], -v[114:115]
	v_dual_cndmask_b32 v97, v173, v143, s2 :: v_dual_cndmask_b32 v96, v96, v142, s2
	v_dual_cndmask_b32 v95, v171, v143, s1 :: v_dual_cndmask_b32 v94, v172, v142, s1
	;; [unrolled: 1-line block ×3, first 2 shown]
	v_dual_cndmask_b32 v115, v141, v143 :: v_dual_cndmask_b32 v114, v167, v142
	v_dual_cndmask_b32 v141, v139, v143, s6 :: v_dual_cndmask_b32 v140, v140, v142, s6
	v_dual_cndmask_b32 v139, v138, v143, s5 :: v_dual_cndmask_b32 v145, v145, v143, s4
	;; [unrolled: 1-line block ×4, first 2 shown]
.LBB1_18:                               ;   in Loop: Header=BB1_10 Depth=2
	s_wait_xcnt 0x0
	s_or_b32 exec_lo, exec_lo, s7
	global_load_b64 v[166:167], v[162:163], off offset:32
	s_wait_loadcnt 0x0
	v_lshl_add_u64 v[168:169], v[166:167], 3, s[12:13]
	global_load_b64 v[170:171], v[164:165], off offset:32
	global_load_b64 v[166:167], v[168:169], off
	s_wait_loadcnt 0x1
	v_cmp_ne_u64_e32 vcc_lo, 0, v[170:171]
	s_wait_loadcnt 0x0
	v_cmp_lt_i64_e64 s0, -1, v[166:167]
	s_and_b32 s0, s0, vcc_lo
	s_wait_xcnt 0x0
	s_and_saveexec_b32 s7, s0
	s_cbranch_execz .LBB1_20
; %bb.19:                               ;   in Loop: Header=BB1_10 Depth=2
	v_lshlrev_b64_e32 v[184:185], 5, v[166:167]
	v_lshlrev_b64_e32 v[166:167], 8, v[166:167]
	v_mov_b32_e32 v170, s20
	s_delay_alu instid0(VALU_DEP_3) | instskip(SKIP_3) | instid1(VALU_DEP_1)
	v_add_nc_u64_e32 v[168:169], s[16:17], v[184:185]
	global_load_b64 v[168:169], v[168:169], off
	s_wait_loadcnt 0x0
	v_ashrrev_i32_e32 v148, 31, v169
	v_lshrrev_b32_e32 v148, 29, v148
	s_wait_xcnt 0x0
	s_delay_alu instid0(VALU_DEP_1) | instskip(NEXT) | instid1(VALU_DEP_1)
	v_add_nc_u64_e32 v[168:169], v[168:169], v[148:149]
	v_ashrrev_i64 v[168:169], 3, v[168:169]
	s_delay_alu instid0(VALU_DEP_1) | instskip(SKIP_1) | instid1(VALU_DEP_1)
	v_cmp_eq_u64_e32 vcc_lo, v[158:159], v[168:169]
	v_dual_mov_b32 v168, s21 :: v_dual_mov_b32 v148, s17
	v_cndmask_b32_e32 v169, s17, v168, vcc_lo
	v_cndmask_b32_e32 v168, s16, v170, vcc_lo
	s_delay_alu instid0(VALU_DEP_3) | instskip(SKIP_1) | instid1(VALU_DEP_3)
	v_cndmask_b32_e32 v187, s21, v148, vcc_lo
	v_cndmask_b32_e64 v148, 0, 0x80, vcc_lo
	v_add_nc_u64_e32 v[176:177], v[168:169], v[184:185]
	s_clause 0x1
	global_load_b128 v[168:171], v[176:177], off
	global_load_b128 v[172:175], v[176:177], off offset:16
	s_wait_xcnt 0x0
	v_add_nc_u64_e32 v[176:177], s[22:23], v[148:149]
	v_mov_b32_e32 v148, s16
	s_delay_alu instid0(VALU_DEP_2) | instskip(NEXT) | instid1(VALU_DEP_1)
	v_add_nc_u64_e32 v[166:167], v[176:177], v[166:167]
	v_add_nc_u64_e32 v[208:209], s[26:27], v[166:167]
	global_load_b128 v[176:179], v[208:209], off
	s_wait_loadcnt 0x2
	v_lshl_add_u64 v[166:167], v[168:169], 3, s[24:25]
	v_lshl_add_u64 v[170:171], v[170:171], 3, s[24:25]
	s_wait_loadcnt 0x1
	v_lshl_add_u64 v[174:175], v[174:175], 3, s[24:25]
	global_load_b64 v[210:211], v[166:167], off
	global_load_b128 v[166:169], v[208:209], off offset:16
	global_load_b64 v[212:213], v[170:171], off
	global_load_b128 v[180:183], v[208:209], off offset:32
	v_cndmask_b32_e32 v186, s20, v148, vcc_lo
	s_wait_xcnt 0x1
	v_lshl_add_u64 v[170:171], v[172:173], 3, s[24:25]
	global_load_b64 v[216:217], v[170:171], off
	s_wait_loadcnt 0x3
	v_mul_f64_e32 v[166:167], v[146:147], v[166:167]
	v_add_nc_u64_e32 v[214:215], v[186:187], v[184:185]
	global_load_b128 v[184:187], v[214:215], off
	global_load_b128 v[170:173], v[208:209], off offset:64
	global_load_b64 v[218:219], v[174:175], off
	s_clause 0x2
	global_load_b128 v[188:191], v[208:209], off offset:48
	global_load_b128 v[192:195], v[208:209], off offset:80
	;; [unrolled: 1-line block ×5, first 2 shown]
	s_wait_xcnt 0x5
	v_mul_f64_e32 v[174:175], v[146:147], v[176:177]
	v_mul_f64_e32 v[176:177], v[146:147], v[178:179]
	s_wait_loadcnt 0x9
	v_mul_f64_e32 v[178:179], v[146:147], v[182:183]
	s_delay_alu instid0(VALU_DEP_3) | instskip(NEXT) | instid1(VALU_DEP_1)
	v_fma_f64 v[174:175], v[174:175], v[210:211], 0
	v_fmac_f64_e32 v[174:175], v[176:177], v[212:213]
	s_wait_loadcnt 0x8
	s_delay_alu instid0(VALU_DEP_1) | instskip(SKIP_2) | instid1(VALU_DEP_1)
	v_fmac_f64_e32 v[174:175], v[166:167], v[216:217]
	s_wait_loadcnt 0x6
	v_dual_mul_f64 v[170:171], v[146:147], v[170:171] :: v_dual_ashrrev_i32 v148, 31, v185
	v_lshrrev_b32_e32 v148, 29, v148
	s_delay_alu instid0(VALU_DEP_1) | instskip(NEXT) | instid1(VALU_DEP_1)
	v_add_nc_u64_e32 v[166:167], v[184:185], v[148:149]
	v_and_b32_e32 v166, -8, v166
	s_delay_alu instid0(VALU_DEP_1) | instskip(SKIP_1) | instid1(VALU_DEP_2)
	v_sub_nc_u64_e32 v[166:167], v[184:185], v[166:167]
	v_fma_f64 v[170:171], v[210:211], v[170:171], 0
	v_cmp_eq_u64_e32 vcc_lo, 1, v[166:167]
	v_cmp_eq_u64_e64 s0, 2, v[166:167]
	v_cmp_eq_u64_e64 s1, 3, v[166:167]
	;; [unrolled: 1-line block ×6, first 2 shown]
	v_cndmask_b32_e32 v148, v143, v145, vcc_lo
	v_mul_f64_e32 v[176:177], v[146:147], v[180:181]
	v_cndmask_b32_e32 v180, v142, v144, vcc_lo
	v_mul_f64_e32 v[168:169], v[146:147], v[168:169]
	v_cmp_eq_u64_e64 s6, 0, v[166:167]
	v_cndmask_b32_e64 v148, v148, v139, s0
	s_delay_alu instid0(VALU_DEP_4) | instskip(SKIP_3) | instid1(VALU_DEP_2)
	v_cndmask_b32_e64 v180, v180, v138, s0
	v_fma_f64 v[176:177], v[210:211], v[176:177], 0
	s_wait_loadcnt 0x5
	v_fmac_f64_e32 v[174:175], v[168:169], v[218:219]
	v_fmac_f64_e32 v[176:177], v[212:213], v[178:179]
	v_cndmask_b32_e64 v178, v180, v140, s1
	s_delay_alu instid0(VALU_DEP_1) | instskip(SKIP_1) | instid1(VALU_DEP_1)
	v_dual_cndmask_b32 v148, v148, v141, s1 :: v_dual_cndmask_b32 v178, v178, v114, s2
	s_wait_loadcnt 0x4
	v_dual_mul_f64 v[168:169], v[146:147], v[188:189] :: v_dual_cndmask_b32 v148, v148, v115, s2
	s_delay_alu instid0(VALU_DEP_1) | instskip(NEXT) | instid1(VALU_DEP_1)
	v_dual_cndmask_b32 v178, v178, v116, s3 :: v_dual_cndmask_b32 v148, v148, v117, s3
	v_dual_cndmask_b32 v178, v178, v94, s4 :: v_dual_cndmask_b32 v148, v148, v95, s4
	s_delay_alu instid0(VALU_DEP_1) | instskip(SKIP_1) | instid1(VALU_DEP_1)
	v_dual_cndmask_b32 v178, v178, v96, s5 :: v_dual_cndmask_b32 v179, v148, v97, s5
	v_ashrrev_i32_e32 v148, 31, v187
	v_dual_add_f64 v[174:175], v[178:179], -v[174:175] :: v_dual_lshrrev_b32 v148, 29, v148
	v_mul_f64_e32 v[172:173], v[146:147], v[172:173]
	s_wait_loadcnt 0x2
	v_mul_f64_e32 v[180:181], v[146:147], v[196:197]
	v_fmac_f64_e32 v[176:177], v[216:217], v[168:169]
	v_add_nc_u64_e32 v[168:169], v[186:187], v[148:149]
	s_delay_alu instid0(VALU_DEP_1) | instskip(NEXT) | instid1(VALU_DEP_1)
	v_dual_mul_f64 v[178:179], v[146:147], v[190:191] :: v_dual_bitop2_b32 v168, -8, v168 bitop3:0x40
	v_sub_nc_u64_e32 v[166:167], v[186:187], v[168:169]
	v_dual_mul_f64 v[168:169], v[146:147], v[192:193] :: v_dual_cndmask_b32 v144, v144, v174, vcc_lo
	v_dual_cndmask_b32 v142, v142, v174, s6 :: v_dual_cndmask_b32 v143, v143, v175, s6
	s_delay_alu instid0(VALU_DEP_3)
	v_cmp_eq_u64_e64 s6, 1, v[166:167]
	v_cndmask_b32_e32 v145, v145, v175, vcc_lo
	v_cmp_eq_u64_e32 vcc_lo, 2, v[166:167]
	v_fmac_f64_e32 v[170:171], v[212:213], v[172:173]
	v_dual_cndmask_b32 v172, v139, v175, s0 :: v_dual_cndmask_b32 v173, v138, v174, s0
	v_cmp_eq_u64_e64 s0, 3, v[166:167]
	v_dual_cndmask_b32 v139, v143, v145, s6 :: v_dual_cndmask_b32 v138, v142, v144, s6
	v_cndmask_b32_e64 v182, v115, v175, s2
	v_fmac_f64_e32 v[176:177], v[218:219], v[178:179]
	s_delay_alu instid0(VALU_DEP_3) | instskip(NEXT) | instid1(VALU_DEP_4)
	v_dual_cndmask_b32 v178, v141, v175, s1 :: v_dual_cndmask_b32 v139, v139, v172, vcc_lo
	v_dual_cndmask_b32 v179, v140, v174, s1 :: v_dual_cndmask_b32 v138, v138, v173, vcc_lo
	v_cmp_eq_u64_e64 s1, 4, v[166:167]
	v_dual_cndmask_b32 v183, v114, v174, s2 :: v_dual_cndmask_b32 v184, v117, v175, s3
	s_delay_alu instid0(VALU_DEP_3) | instskip(SKIP_2) | instid1(VALU_DEP_3)
	v_dual_cndmask_b32 v115, v139, v178, s0 :: v_dual_cndmask_b32 v114, v138, v179, s0
	v_cmp_eq_u64_e64 s2, 5, v[166:167]
	v_dual_cndmask_b32 v185, v116, v174, s3 :: v_dual_cndmask_b32 v186, v95, v175, s4
	v_dual_cndmask_b32 v115, v115, v182, s1 :: v_dual_cndmask_b32 v114, v114, v183, s1
	v_cmp_eq_u64_e64 s3, 6, v[166:167]
	v_cndmask_b32_e64 v187, v94, v174, s4
	v_cmp_eq_u64_e64 s4, 7, v[166:167]
	s_delay_alu instid0(VALU_DEP_4) | instskip(SKIP_3) | instid1(VALU_DEP_3)
	v_dual_cndmask_b32 v95, v115, v184, s2 :: v_dual_cndmask_b32 v94, v114, v185, s2
	s_wait_loadcnt 0x1
	v_dual_cndmask_b32 v175, v97, v175, s5 :: v_dual_ashrrev_i32 v138, 31, v201
	v_fma_f64 v[114:115], v[210:211], v[180:181], 0
	v_dual_cndmask_b32 v95, v95, v186, s3 :: v_dual_cndmask_b32 v94, v94, v187, s3
	v_cndmask_b32_e64 v174, v96, v174, s5
	s_delay_alu instid0(VALU_DEP_4) | instskip(SKIP_1) | instid1(VALU_DEP_4)
	v_lshrrev_b32_e32 v148, 29, v138
	v_cmp_eq_u64_e64 s5, 0, v[166:167]
	v_cndmask_b32_e64 v95, v95, v175, s4
	v_fmac_f64_e32 v[170:171], v[216:217], v[168:169]
	v_cndmask_b32_e64 v94, v94, v174, s4
	v_add_nc_u64_e32 v[138:139], v[200:201], v[148:149]
	s_wait_loadcnt 0x0
	v_mul_f64_e32 v[140:141], v[146:147], v[204:205]
	s_delay_alu instid0(VALU_DEP_2) | instskip(NEXT) | instid1(VALU_DEP_1)
	v_dual_add_f64 v[94:95], v[94:95], -v[176:177] :: v_dual_bitop2_b32 v138, -8, v138 bitop3:0x40
	v_sub_nc_u64_e32 v[138:139], v[200:201], v[138:139]
	s_delay_alu instid0(VALU_DEP_2) | instskip(SKIP_1) | instid1(VALU_DEP_3)
	v_dual_cndmask_b32 v142, v142, v94, s5 :: v_dual_cndmask_b32 v145, v145, v95, s6
	v_dual_cndmask_b32 v143, v143, v95, s5 :: v_dual_cndmask_b32 v144, v144, v94, s6
	v_cmp_eq_u64_e64 s5, 1, v[138:139]
	v_cndmask_b32_e32 v166, v172, v95, vcc_lo
	v_cmp_eq_u64_e64 s6, 2, v[138:139]
	v_dual_cndmask_b32 v167, v173, v94, vcc_lo :: v_dual_cndmask_b32 v168, v178, v95, s0
	v_cmp_eq_u64_e32 vcc_lo, 3, v[138:139]
	v_mul_f64_e32 v[116:117], v[146:147], v[194:195]
	v_dual_cndmask_b32 v172, v182, v95, s1 :: v_dual_cndmask_b32 v173, v183, v94, s1
	v_cmp_eq_u64_e64 s1, 5, v[138:139]
	v_dual_cndmask_b32 v176, v184, v95, s2 :: v_dual_cndmask_b32 v177, v185, v94, s2
	v_cmp_eq_u64_e64 s2, 6, v[138:139]
	v_dual_cndmask_b32 v178, v186, v95, s3 :: v_dual_cndmask_b32 v175, v175, v95, s4
	v_fmac_f64_e32 v[170:171], v[218:219], v[116:117]
	v_ashrrev_i32_e32 v116, 31, v203
	s_delay_alu instid0(VALU_DEP_1) | instskip(NEXT) | instid1(VALU_DEP_1)
	v_dual_mul_f64 v[96:97], v[146:147], v[198:199] :: v_dual_lshrrev_b32 v148, 29, v116
	v_add_nc_u64_e32 v[116:117], v[202:203], v[148:149]
	s_delay_alu instid0(VALU_DEP_1) | instskip(NEXT) | instid1(VALU_DEP_1)
	v_and_b32_e32 v116, -8, v116
	v_sub_nc_u64_e32 v[116:117], v[202:203], v[116:117]
	s_delay_alu instid0(VALU_DEP_4) | instskip(SKIP_4) | instid1(VALU_DEP_4)
	v_fmac_f64_e32 v[114:115], v[212:213], v[96:97]
	v_dual_cndmask_b32 v96, v143, v145, s5 :: v_dual_cndmask_b32 v97, v142, v144, s5
	v_cndmask_b32_e64 v169, v179, v94, s0
	v_cmp_eq_u64_e64 s0, 4, v[138:139]
	v_cndmask_b32_e64 v179, v187, v94, s3
	v_dual_cndmask_b32 v96, v96, v166, s6 :: v_dual_cndmask_b32 v97, v97, v167, s6
	v_cmp_eq_u64_e64 s3, 7, v[138:139]
	s_delay_alu instid0(VALU_DEP_2) | instskip(NEXT) | instid1(VALU_DEP_1)
	v_dual_cndmask_b32 v96, v96, v168 :: v_dual_cndmask_b32 v97, v97, v169
	v_dual_cndmask_b32 v96, v96, v172, s0 :: v_dual_cndmask_b32 v97, v97, v173, s0
	s_delay_alu instid0(VALU_DEP_1) | instskip(NEXT) | instid1(VALU_DEP_1)
	v_dual_cndmask_b32 v96, v96, v176, s1 :: v_dual_cndmask_b32 v97, v97, v177, s1
	v_cndmask_b32_e64 v95, v96, v178, s2
	s_delay_alu instid0(VALU_DEP_2) | instskip(SKIP_2) | instid1(VALU_DEP_4)
	v_dual_cndmask_b32 v174, v174, v94, s4 :: v_dual_cndmask_b32 v94, v97, v179, s2
	v_mul_f64_e32 v[96:97], v[146:147], v[206:207]
	v_cmp_eq_u64_e64 s4, 0, v[138:139]
	v_cndmask_b32_e64 v95, v95, v175, s3
	v_fmac_f64_e32 v[114:115], v[216:217], v[140:141]
	v_cndmask_b32_e64 v94, v94, v174, s3
	s_delay_alu instid0(VALU_DEP_1) | instskip(NEXT) | instid1(VALU_DEP_3)
	v_add_f64_e64 v[94:95], v[94:95], -v[170:171]
	v_fmac_f64_e32 v[114:115], v[218:219], v[96:97]
	s_delay_alu instid0(VALU_DEP_2) | instskip(SKIP_2) | instid1(VALU_DEP_1)
	v_dual_cndmask_b32 v148, v142, v94, s4 :: v_dual_cndmask_b32 v170, v143, v95, s4
	v_cndmask_b32_e64 v144, v144, v94, s5
	v_cmp_eq_u64_e64 s4, 1, v[116:117]
	v_dual_cndmask_b32 v97, v148, v144, s4 :: v_dual_cndmask_b32 v145, v145, v95, s5
	v_cndmask_b32_e64 v138, v166, v95, s6
	v_cmp_eq_u64_e64 s5, 2, v[116:117]
	v_cndmask_b32_e64 v166, v167, v94, s6
	v_cmp_eq_u64_e64 s6, 3, v[116:117]
	v_dual_cndmask_b32 v96, v170, v145, s4 :: v_dual_cndmask_b32 v139, v168, v95, vcc_lo
	v_dual_cndmask_b32 v140, v169, v94, vcc_lo :: v_dual_cndmask_b32 v141, v172, v95, s0
	s_delay_alu instid0(VALU_DEP_4) | instskip(NEXT) | instid1(VALU_DEP_3)
	v_cndmask_b32_e64 v97, v97, v166, s5
	v_cndmask_b32_e64 v96, v96, v138, s5
	v_cmp_eq_u64_e32 vcc_lo, 4, v[116:117]
	v_cndmask_b32_e64 v167, v173, v94, s0
	v_cmp_eq_u64_e64 s0, 5, v[116:117]
	s_delay_alu instid0(VALU_DEP_4) | instskip(SKIP_2) | instid1(VALU_DEP_3)
	v_dual_cndmask_b32 v97, v97, v140, s6 :: v_dual_cndmask_b32 v96, v96, v139, s6
	v_dual_cndmask_b32 v168, v176, v95, s1 :: v_dual_cndmask_b32 v169, v177, v94, s1
	v_cmp_eq_u64_e64 s1, 6, v[116:117]
	v_dual_cndmask_b32 v97, v97, v167 :: v_dual_cndmask_b32 v96, v96, v141
	v_dual_cndmask_b32 v171, v178, v95, s2 :: v_dual_cndmask_b32 v172, v179, v94, s2
	v_cmp_eq_u64_e64 s2, 7, v[116:117]
	s_delay_alu instid0(VALU_DEP_3) | instskip(SKIP_1) | instid1(VALU_DEP_2)
	v_dual_cndmask_b32 v97, v97, v169, s0 :: v_dual_cndmask_b32 v96, v96, v168, s0
	v_cndmask_b32_e64 v173, v175, v95, s3
	v_dual_cndmask_b32 v95, v96, v171, s1 :: v_dual_cndmask_b32 v96, v174, v94, s3
	s_delay_alu instid0(VALU_DEP_3) | instskip(SKIP_1) | instid1(VALU_DEP_2)
	v_cndmask_b32_e64 v94, v97, v172, s1
	v_cmp_eq_u64_e64 s3, 0, v[116:117]
	v_dual_cndmask_b32 v95, v95, v173, s2 :: v_dual_cndmask_b32 v94, v94, v96, s2
	s_delay_alu instid0(VALU_DEP_1) | instskip(NEXT) | instid1(VALU_DEP_1)
	v_add_f64_e64 v[142:143], v[94:95], -v[114:115]
	v_dual_cndmask_b32 v97, v173, v143, s2 :: v_dual_cndmask_b32 v96, v96, v142, s2
	v_dual_cndmask_b32 v95, v171, v143, s1 :: v_dual_cndmask_b32 v94, v172, v142, s1
	;; [unrolled: 1-line block ×3, first 2 shown]
	v_dual_cndmask_b32 v115, v141, v143 :: v_dual_cndmask_b32 v114, v167, v142
	v_dual_cndmask_b32 v141, v139, v143, s6 :: v_dual_cndmask_b32 v140, v140, v142, s6
	v_dual_cndmask_b32 v139, v138, v143, s5 :: v_dual_cndmask_b32 v145, v145, v143, s4
	;; [unrolled: 1-line block ×4, first 2 shown]
.LBB1_20:                               ;   in Loop: Header=BB1_10 Depth=2
	s_wait_xcnt 0x0
	s_or_b32 exec_lo, exec_lo, s7
	global_load_b64 v[162:163], v[162:163], off offset:40
	s_wait_loadcnt 0x0
	v_lshl_add_u64 v[166:167], v[162:163], 3, s[12:13]
	global_load_b64 v[168:169], v[164:165], off offset:40
	global_load_b64 v[162:163], v[166:167], off
	s_wait_loadcnt 0x1
	v_cmp_ne_u64_e32 vcc_lo, 0, v[168:169]
	s_wait_loadcnt 0x0
	v_cmp_lt_i64_e64 s0, -1, v[162:163]
	s_and_b32 s0, s0, vcc_lo
	s_wait_xcnt 0x0
	s_and_saveexec_b32 s7, s0
	s_cbranch_execz .LBB1_9
; %bb.21:                               ;   in Loop: Header=BB1_10 Depth=2
	v_lshlrev_b64_e32 v[180:181], 5, v[162:163]
	v_lshlrev_b64_e32 v[162:163], 8, v[162:163]
	v_mov_b32_e32 v166, s20
	s_delay_alu instid0(VALU_DEP_3) | instskip(SKIP_3) | instid1(VALU_DEP_1)
	v_add_nc_u64_e32 v[164:165], s[16:17], v[180:181]
	global_load_b64 v[164:165], v[164:165], off
	s_wait_loadcnt 0x0
	v_ashrrev_i32_e32 v148, 31, v165
	v_lshrrev_b32_e32 v148, 29, v148
	s_wait_xcnt 0x0
	s_delay_alu instid0(VALU_DEP_1) | instskip(NEXT) | instid1(VALU_DEP_1)
	v_add_nc_u64_e32 v[164:165], v[164:165], v[148:149]
	v_ashrrev_i64 v[164:165], 3, v[164:165]
	s_delay_alu instid0(VALU_DEP_1) | instskip(SKIP_1) | instid1(VALU_DEP_1)
	v_cmp_eq_u64_e32 vcc_lo, v[158:159], v[164:165]
	v_dual_mov_b32 v164, s21 :: v_dual_mov_b32 v148, s17
	v_cndmask_b32_e32 v165, s17, v164, vcc_lo
	v_cndmask_b32_e32 v164, s16, v166, vcc_lo
	s_delay_alu instid0(VALU_DEP_3) | instskip(SKIP_1) | instid1(VALU_DEP_3)
	v_cndmask_b32_e32 v183, s21, v148, vcc_lo
	v_cndmask_b32_e64 v148, 0, 0x80, vcc_lo
	v_add_nc_u64_e32 v[172:173], v[164:165], v[180:181]
	s_clause 0x1
	global_load_b128 v[164:167], v[172:173], off
	global_load_b128 v[168:171], v[172:173], off offset:16
	s_wait_xcnt 0x0
	v_add_nc_u64_e32 v[172:173], s[22:23], v[148:149]
	v_mov_b32_e32 v148, s16
	s_delay_alu instid0(VALU_DEP_2) | instskip(NEXT) | instid1(VALU_DEP_1)
	v_add_nc_u64_e32 v[162:163], v[172:173], v[162:163]
	v_add_nc_u64_e32 v[204:205], s[26:27], v[162:163]
	global_load_b128 v[172:175], v[204:205], off
	s_wait_loadcnt 0x2
	v_lshl_add_u64 v[162:163], v[164:165], 3, s[24:25]
	v_lshl_add_u64 v[166:167], v[166:167], 3, s[24:25]
	s_wait_loadcnt 0x1
	v_lshl_add_u64 v[170:171], v[170:171], 3, s[24:25]
	global_load_b64 v[206:207], v[162:163], off
	global_load_b128 v[162:165], v[204:205], off offset:16
	global_load_b64 v[208:209], v[166:167], off
	global_load_b128 v[176:179], v[204:205], off offset:32
	v_cndmask_b32_e32 v182, s20, v148, vcc_lo
	s_wait_xcnt 0x1
	v_lshl_add_u64 v[166:167], v[168:169], 3, s[24:25]
	global_load_b64 v[212:213], v[166:167], off
	s_wait_loadcnt 0x3
	v_mul_f64_e32 v[162:163], v[146:147], v[162:163]
	v_add_nc_u64_e32 v[210:211], v[182:183], v[180:181]
	global_load_b128 v[180:183], v[210:211], off
	global_load_b128 v[166:169], v[204:205], off offset:64
	global_load_b64 v[214:215], v[170:171], off
	s_clause 0x2
	global_load_b128 v[184:187], v[204:205], off offset:48
	global_load_b128 v[188:191], v[204:205], off offset:80
	;; [unrolled: 1-line block ×5, first 2 shown]
	s_wait_xcnt 0x5
	v_mul_f64_e32 v[170:171], v[146:147], v[172:173]
	v_mul_f64_e32 v[172:173], v[146:147], v[174:175]
	s_wait_loadcnt 0x9
	v_mul_f64_e32 v[174:175], v[146:147], v[178:179]
	s_delay_alu instid0(VALU_DEP_3) | instskip(NEXT) | instid1(VALU_DEP_1)
	v_fma_f64 v[170:171], v[170:171], v[206:207], 0
	v_fmac_f64_e32 v[170:171], v[172:173], v[208:209]
	s_wait_loadcnt 0x8
	s_delay_alu instid0(VALU_DEP_1) | instskip(SKIP_2) | instid1(VALU_DEP_1)
	v_fmac_f64_e32 v[170:171], v[162:163], v[212:213]
	s_wait_loadcnt 0x6
	v_dual_mul_f64 v[166:167], v[146:147], v[166:167] :: v_dual_ashrrev_i32 v148, 31, v181
	v_lshrrev_b32_e32 v148, 29, v148
	s_delay_alu instid0(VALU_DEP_1) | instskip(NEXT) | instid1(VALU_DEP_1)
	v_add_nc_u64_e32 v[162:163], v[180:181], v[148:149]
	v_and_b32_e32 v162, -8, v162
	s_delay_alu instid0(VALU_DEP_1) | instskip(SKIP_1) | instid1(VALU_DEP_2)
	v_sub_nc_u64_e32 v[162:163], v[180:181], v[162:163]
	v_fma_f64 v[166:167], v[206:207], v[166:167], 0
	v_cmp_eq_u64_e32 vcc_lo, 1, v[162:163]
	v_cmp_eq_u64_e64 s0, 2, v[162:163]
	v_cmp_eq_u64_e64 s1, 3, v[162:163]
	;; [unrolled: 1-line block ×6, first 2 shown]
	v_cndmask_b32_e32 v148, v143, v145, vcc_lo
	v_mul_f64_e32 v[172:173], v[146:147], v[176:177]
	v_cndmask_b32_e32 v176, v142, v144, vcc_lo
	v_mul_f64_e32 v[164:165], v[146:147], v[164:165]
	v_cmp_eq_u64_e64 s6, 0, v[162:163]
	v_cndmask_b32_e64 v148, v148, v139, s0
	s_delay_alu instid0(VALU_DEP_4) | instskip(SKIP_3) | instid1(VALU_DEP_2)
	v_cndmask_b32_e64 v176, v176, v138, s0
	v_fma_f64 v[172:173], v[206:207], v[172:173], 0
	s_wait_loadcnt 0x5
	v_fmac_f64_e32 v[170:171], v[164:165], v[214:215]
	v_fmac_f64_e32 v[172:173], v[208:209], v[174:175]
	v_cndmask_b32_e64 v174, v176, v140, s1
	s_delay_alu instid0(VALU_DEP_1) | instskip(SKIP_1) | instid1(VALU_DEP_1)
	v_dual_cndmask_b32 v148, v148, v141, s1 :: v_dual_cndmask_b32 v174, v174, v114, s2
	s_wait_loadcnt 0x4
	v_dual_mul_f64 v[164:165], v[146:147], v[184:185] :: v_dual_cndmask_b32 v148, v148, v115, s2
	s_delay_alu instid0(VALU_DEP_1) | instskip(NEXT) | instid1(VALU_DEP_1)
	v_dual_cndmask_b32 v174, v174, v116, s3 :: v_dual_cndmask_b32 v148, v148, v117, s3
	v_dual_cndmask_b32 v174, v174, v94, s4 :: v_dual_cndmask_b32 v148, v148, v95, s4
	s_delay_alu instid0(VALU_DEP_1) | instskip(SKIP_1) | instid1(VALU_DEP_1)
	v_dual_cndmask_b32 v174, v174, v96, s5 :: v_dual_cndmask_b32 v175, v148, v97, s5
	v_ashrrev_i32_e32 v148, 31, v183
	v_dual_add_f64 v[170:171], v[174:175], -v[170:171] :: v_dual_lshrrev_b32 v148, 29, v148
	v_mul_f64_e32 v[168:169], v[146:147], v[168:169]
	s_wait_loadcnt 0x2
	v_mul_f64_e32 v[176:177], v[146:147], v[192:193]
	v_fmac_f64_e32 v[172:173], v[212:213], v[164:165]
	v_add_nc_u64_e32 v[164:165], v[182:183], v[148:149]
	s_delay_alu instid0(VALU_DEP_1) | instskip(NEXT) | instid1(VALU_DEP_1)
	v_dual_mul_f64 v[174:175], v[146:147], v[186:187] :: v_dual_bitop2_b32 v164, -8, v164 bitop3:0x40
	v_sub_nc_u64_e32 v[162:163], v[182:183], v[164:165]
	v_dual_mul_f64 v[164:165], v[146:147], v[188:189] :: v_dual_cndmask_b32 v144, v144, v170, vcc_lo
	v_dual_cndmask_b32 v142, v142, v170, s6 :: v_dual_cndmask_b32 v143, v143, v171, s6
	s_delay_alu instid0(VALU_DEP_3)
	v_cmp_eq_u64_e64 s6, 1, v[162:163]
	v_cndmask_b32_e32 v145, v145, v171, vcc_lo
	v_cmp_eq_u64_e32 vcc_lo, 2, v[162:163]
	v_fmac_f64_e32 v[166:167], v[208:209], v[168:169]
	v_dual_cndmask_b32 v168, v139, v171, s0 :: v_dual_cndmask_b32 v169, v138, v170, s0
	v_cmp_eq_u64_e64 s0, 3, v[162:163]
	v_dual_cndmask_b32 v139, v143, v145, s6 :: v_dual_cndmask_b32 v138, v142, v144, s6
	v_cndmask_b32_e64 v178, v115, v171, s2
	v_fmac_f64_e32 v[172:173], v[214:215], v[174:175]
	s_delay_alu instid0(VALU_DEP_3) | instskip(NEXT) | instid1(VALU_DEP_4)
	v_dual_cndmask_b32 v174, v141, v171, s1 :: v_dual_cndmask_b32 v139, v139, v168, vcc_lo
	v_dual_cndmask_b32 v175, v140, v170, s1 :: v_dual_cndmask_b32 v138, v138, v169, vcc_lo
	v_cmp_eq_u64_e64 s1, 4, v[162:163]
	v_dual_cndmask_b32 v179, v114, v170, s2 :: v_dual_cndmask_b32 v180, v117, v171, s3
	s_delay_alu instid0(VALU_DEP_3) | instskip(SKIP_2) | instid1(VALU_DEP_3)
	v_dual_cndmask_b32 v115, v139, v174, s0 :: v_dual_cndmask_b32 v114, v138, v175, s0
	v_cmp_eq_u64_e64 s2, 5, v[162:163]
	v_dual_cndmask_b32 v181, v116, v170, s3 :: v_dual_cndmask_b32 v182, v95, v171, s4
	v_dual_cndmask_b32 v115, v115, v178, s1 :: v_dual_cndmask_b32 v114, v114, v179, s1
	v_cmp_eq_u64_e64 s3, 6, v[162:163]
	v_cndmask_b32_e64 v183, v94, v170, s4
	v_cmp_eq_u64_e64 s4, 7, v[162:163]
	s_delay_alu instid0(VALU_DEP_4) | instskip(SKIP_3) | instid1(VALU_DEP_3)
	v_dual_cndmask_b32 v95, v115, v180, s2 :: v_dual_cndmask_b32 v94, v114, v181, s2
	s_wait_loadcnt 0x1
	v_dual_cndmask_b32 v171, v97, v171, s5 :: v_dual_ashrrev_i32 v138, 31, v197
	v_fma_f64 v[114:115], v[206:207], v[176:177], 0
	v_dual_cndmask_b32 v95, v95, v182, s3 :: v_dual_cndmask_b32 v94, v94, v183, s3
	v_cndmask_b32_e64 v170, v96, v170, s5
	s_delay_alu instid0(VALU_DEP_4) | instskip(SKIP_1) | instid1(VALU_DEP_4)
	v_lshrrev_b32_e32 v148, 29, v138
	v_cmp_eq_u64_e64 s5, 0, v[162:163]
	v_cndmask_b32_e64 v95, v95, v171, s4
	v_fmac_f64_e32 v[166:167], v[212:213], v[164:165]
	v_cndmask_b32_e64 v94, v94, v170, s4
	v_add_nc_u64_e32 v[138:139], v[196:197], v[148:149]
	s_wait_loadcnt 0x0
	v_mul_f64_e32 v[140:141], v[146:147], v[200:201]
	s_delay_alu instid0(VALU_DEP_2) | instskip(NEXT) | instid1(VALU_DEP_1)
	v_dual_add_f64 v[94:95], v[94:95], -v[172:173] :: v_dual_bitop2_b32 v138, -8, v138 bitop3:0x40
	v_sub_nc_u64_e32 v[138:139], v[196:197], v[138:139]
	s_delay_alu instid0(VALU_DEP_2) | instskip(SKIP_1) | instid1(VALU_DEP_3)
	v_dual_cndmask_b32 v142, v142, v94, s5 :: v_dual_cndmask_b32 v145, v145, v95, s6
	v_dual_cndmask_b32 v143, v143, v95, s5 :: v_dual_cndmask_b32 v144, v144, v94, s6
	v_cmp_eq_u64_e64 s5, 1, v[138:139]
	v_cndmask_b32_e32 v162, v168, v95, vcc_lo
	v_cmp_eq_u64_e64 s6, 2, v[138:139]
	v_dual_cndmask_b32 v163, v169, v94, vcc_lo :: v_dual_cndmask_b32 v164, v174, v95, s0
	v_cmp_eq_u64_e32 vcc_lo, 3, v[138:139]
	v_mul_f64_e32 v[116:117], v[146:147], v[190:191]
	v_dual_cndmask_b32 v168, v178, v95, s1 :: v_dual_cndmask_b32 v169, v179, v94, s1
	v_cmp_eq_u64_e64 s1, 5, v[138:139]
	v_dual_cndmask_b32 v172, v180, v95, s2 :: v_dual_cndmask_b32 v173, v181, v94, s2
	v_cmp_eq_u64_e64 s2, 6, v[138:139]
	v_dual_cndmask_b32 v174, v182, v95, s3 :: v_dual_cndmask_b32 v171, v171, v95, s4
	v_fmac_f64_e32 v[166:167], v[214:215], v[116:117]
	v_ashrrev_i32_e32 v116, 31, v199
	s_delay_alu instid0(VALU_DEP_1) | instskip(NEXT) | instid1(VALU_DEP_1)
	v_dual_mul_f64 v[96:97], v[146:147], v[194:195] :: v_dual_lshrrev_b32 v148, 29, v116
	v_add_nc_u64_e32 v[116:117], v[198:199], v[148:149]
	s_delay_alu instid0(VALU_DEP_1) | instskip(NEXT) | instid1(VALU_DEP_1)
	v_and_b32_e32 v116, -8, v116
	v_sub_nc_u64_e32 v[116:117], v[198:199], v[116:117]
	s_delay_alu instid0(VALU_DEP_4) | instskip(SKIP_4) | instid1(VALU_DEP_4)
	v_fmac_f64_e32 v[114:115], v[208:209], v[96:97]
	v_dual_cndmask_b32 v96, v143, v145, s5 :: v_dual_cndmask_b32 v97, v142, v144, s5
	v_cndmask_b32_e64 v165, v175, v94, s0
	v_cmp_eq_u64_e64 s0, 4, v[138:139]
	v_cndmask_b32_e64 v175, v183, v94, s3
	v_dual_cndmask_b32 v96, v96, v162, s6 :: v_dual_cndmask_b32 v97, v97, v163, s6
	v_cmp_eq_u64_e64 s3, 7, v[138:139]
	s_delay_alu instid0(VALU_DEP_2) | instskip(NEXT) | instid1(VALU_DEP_1)
	v_dual_cndmask_b32 v96, v96, v164 :: v_dual_cndmask_b32 v97, v97, v165
	v_dual_cndmask_b32 v96, v96, v168, s0 :: v_dual_cndmask_b32 v97, v97, v169, s0
	s_delay_alu instid0(VALU_DEP_1) | instskip(NEXT) | instid1(VALU_DEP_1)
	v_dual_cndmask_b32 v96, v96, v172, s1 :: v_dual_cndmask_b32 v97, v97, v173, s1
	v_cndmask_b32_e64 v95, v96, v174, s2
	s_delay_alu instid0(VALU_DEP_2) | instskip(SKIP_2) | instid1(VALU_DEP_4)
	v_dual_cndmask_b32 v170, v170, v94, s4 :: v_dual_cndmask_b32 v94, v97, v175, s2
	v_mul_f64_e32 v[96:97], v[146:147], v[202:203]
	v_cmp_eq_u64_e64 s4, 0, v[138:139]
	v_cndmask_b32_e64 v95, v95, v171, s3
	v_fmac_f64_e32 v[114:115], v[212:213], v[140:141]
	v_cndmask_b32_e64 v94, v94, v170, s3
	s_delay_alu instid0(VALU_DEP_1) | instskip(NEXT) | instid1(VALU_DEP_3)
	v_add_f64_e64 v[94:95], v[94:95], -v[166:167]
	v_fmac_f64_e32 v[114:115], v[214:215], v[96:97]
	s_delay_alu instid0(VALU_DEP_2) | instskip(SKIP_2) | instid1(VALU_DEP_1)
	v_dual_cndmask_b32 v148, v142, v94, s4 :: v_dual_cndmask_b32 v166, v143, v95, s4
	v_cndmask_b32_e64 v144, v144, v94, s5
	v_cmp_eq_u64_e64 s4, 1, v[116:117]
	v_dual_cndmask_b32 v97, v148, v144, s4 :: v_dual_cndmask_b32 v145, v145, v95, s5
	v_cndmask_b32_e64 v138, v162, v95, s6
	v_cmp_eq_u64_e64 s5, 2, v[116:117]
	v_cndmask_b32_e64 v162, v163, v94, s6
	v_cmp_eq_u64_e64 s6, 3, v[116:117]
	v_dual_cndmask_b32 v96, v166, v145, s4 :: v_dual_cndmask_b32 v139, v164, v95, vcc_lo
	v_dual_cndmask_b32 v140, v165, v94, vcc_lo :: v_dual_cndmask_b32 v141, v168, v95, s0
	s_delay_alu instid0(VALU_DEP_4) | instskip(NEXT) | instid1(VALU_DEP_3)
	v_cndmask_b32_e64 v97, v97, v162, s5
	v_cndmask_b32_e64 v96, v96, v138, s5
	v_cmp_eq_u64_e32 vcc_lo, 4, v[116:117]
	v_cndmask_b32_e64 v163, v169, v94, s0
	v_cmp_eq_u64_e64 s0, 5, v[116:117]
	s_delay_alu instid0(VALU_DEP_4) | instskip(SKIP_2) | instid1(VALU_DEP_3)
	v_dual_cndmask_b32 v97, v97, v140, s6 :: v_dual_cndmask_b32 v96, v96, v139, s6
	v_dual_cndmask_b32 v164, v172, v95, s1 :: v_dual_cndmask_b32 v165, v173, v94, s1
	v_cmp_eq_u64_e64 s1, 6, v[116:117]
	v_dual_cndmask_b32 v97, v97, v163 :: v_dual_cndmask_b32 v96, v96, v141
	v_dual_cndmask_b32 v167, v174, v95, s2 :: v_dual_cndmask_b32 v168, v175, v94, s2
	v_cmp_eq_u64_e64 s2, 7, v[116:117]
	s_delay_alu instid0(VALU_DEP_3) | instskip(SKIP_1) | instid1(VALU_DEP_2)
	v_dual_cndmask_b32 v97, v97, v165, s0 :: v_dual_cndmask_b32 v96, v96, v164, s0
	v_cndmask_b32_e64 v169, v171, v95, s3
	v_dual_cndmask_b32 v95, v96, v167, s1 :: v_dual_cndmask_b32 v96, v170, v94, s3
	s_delay_alu instid0(VALU_DEP_3) | instskip(SKIP_1) | instid1(VALU_DEP_2)
	v_cndmask_b32_e64 v94, v97, v168, s1
	v_cmp_eq_u64_e64 s3, 0, v[116:117]
	v_dual_cndmask_b32 v95, v95, v169, s2 :: v_dual_cndmask_b32 v94, v94, v96, s2
	s_delay_alu instid0(VALU_DEP_1) | instskip(NEXT) | instid1(VALU_DEP_1)
	v_add_f64_e64 v[142:143], v[94:95], -v[114:115]
	v_dual_cndmask_b32 v97, v169, v143, s2 :: v_dual_cndmask_b32 v96, v96, v142, s2
	v_dual_cndmask_b32 v95, v167, v143, s1 :: v_dual_cndmask_b32 v94, v168, v142, s1
	;; [unrolled: 1-line block ×3, first 2 shown]
	v_dual_cndmask_b32 v115, v141, v143 :: v_dual_cndmask_b32 v114, v163, v142
	v_dual_cndmask_b32 v141, v139, v143, s6 :: v_dual_cndmask_b32 v140, v140, v142, s6
	v_dual_cndmask_b32 v139, v138, v143, s5 :: v_dual_cndmask_b32 v145, v145, v143, s4
	;; [unrolled: 1-line block ×4, first 2 shown]
	s_branch .LBB1_9
.LBB1_22:
	s_endpgm
	.section	.rodata,"a",@progbits
	.p2align	6, 0x0
	.amdhsa_kernel _ZN4RAJA34launch_new_reduce_global_fcn_fixedIZN8rajaperf4apps8FEMSWEEP17runHipVariantImplILm64EEEvNS1_9VariantIDEEUlNS_14LaunchContextTINS_3hip33LaunchContextIndicesAndDimsPolicyINS7_14IndicesAndDimsILb0ELb0ELb0ELb0EEEEEEEE_Li64ENS_4expt15ForallParamPackIJEEEEEvT_T1_
		.amdhsa_group_segment_fixed_size 0
		.amdhsa_private_segment_fixed_size 0
		.amdhsa_kernarg_size 156
		.amdhsa_user_sgpr_count 2
		.amdhsa_user_sgpr_dispatch_ptr 0
		.amdhsa_user_sgpr_queue_ptr 0
		.amdhsa_user_sgpr_kernarg_segment_ptr 1
		.amdhsa_user_sgpr_dispatch_id 0
		.amdhsa_user_sgpr_kernarg_preload_length 0
		.amdhsa_user_sgpr_kernarg_preload_offset 0
		.amdhsa_user_sgpr_private_segment_size 0
		.amdhsa_wavefront_size32 1
		.amdhsa_uses_dynamic_stack 0
		.amdhsa_enable_private_segment 0
		.amdhsa_system_sgpr_workgroup_id_x 1
		.amdhsa_system_sgpr_workgroup_id_y 1
		.amdhsa_system_sgpr_workgroup_id_z 0
		.amdhsa_system_sgpr_workgroup_info 0
		.amdhsa_system_vgpr_workitem_id 0
		.amdhsa_next_free_vgpr 234
		.amdhsa_next_free_sgpr 54
		.amdhsa_named_barrier_count 0
		.amdhsa_reserve_vcc 1
		.amdhsa_float_round_mode_32 0
		.amdhsa_float_round_mode_16_64 0
		.amdhsa_float_denorm_mode_32 3
		.amdhsa_float_denorm_mode_16_64 3
		.amdhsa_fp16_overflow 0
		.amdhsa_memory_ordered 1
		.amdhsa_forward_progress 1
		.amdhsa_inst_pref_size 149
		.amdhsa_round_robin_scheduling 0
		.amdhsa_exception_fp_ieee_invalid_op 0
		.amdhsa_exception_fp_denorm_src 0
		.amdhsa_exception_fp_ieee_div_zero 0
		.amdhsa_exception_fp_ieee_overflow 0
		.amdhsa_exception_fp_ieee_underflow 0
		.amdhsa_exception_fp_ieee_inexact 0
		.amdhsa_exception_int_div_zero 0
	.end_amdhsa_kernel
	.section	.text._ZN4RAJA34launch_new_reduce_global_fcn_fixedIZN8rajaperf4apps8FEMSWEEP17runHipVariantImplILm64EEEvNS1_9VariantIDEEUlNS_14LaunchContextTINS_3hip33LaunchContextIndicesAndDimsPolicyINS7_14IndicesAndDimsILb0ELb0ELb0ELb0EEEEEEEE_Li64ENS_4expt15ForallParamPackIJEEEEEvT_T1_,"axG",@progbits,_ZN4RAJA34launch_new_reduce_global_fcn_fixedIZN8rajaperf4apps8FEMSWEEP17runHipVariantImplILm64EEEvNS1_9VariantIDEEUlNS_14LaunchContextTINS_3hip33LaunchContextIndicesAndDimsPolicyINS7_14IndicesAndDimsILb0ELb0ELb0ELb0EEEEEEEE_Li64ENS_4expt15ForallParamPackIJEEEEEvT_T1_,comdat
.Lfunc_end1:
	.size	_ZN4RAJA34launch_new_reduce_global_fcn_fixedIZN8rajaperf4apps8FEMSWEEP17runHipVariantImplILm64EEEvNS1_9VariantIDEEUlNS_14LaunchContextTINS_3hip33LaunchContextIndicesAndDimsPolicyINS7_14IndicesAndDimsILb0ELb0ELb0ELb0EEEEEEEE_Li64ENS_4expt15ForallParamPackIJEEEEEvT_T1_, .Lfunc_end1-_ZN4RAJA34launch_new_reduce_global_fcn_fixedIZN8rajaperf4apps8FEMSWEEP17runHipVariantImplILm64EEEvNS1_9VariantIDEEUlNS_14LaunchContextTINS_3hip33LaunchContextIndicesAndDimsPolicyINS7_14IndicesAndDimsILb0ELb0ELb0ELb0EEEEEEEE_Li64ENS_4expt15ForallParamPackIJEEEEEvT_T1_
                                        ; -- End function
	.set _ZN4RAJA34launch_new_reduce_global_fcn_fixedIZN8rajaperf4apps8FEMSWEEP17runHipVariantImplILm64EEEvNS1_9VariantIDEEUlNS_14LaunchContextTINS_3hip33LaunchContextIndicesAndDimsPolicyINS7_14IndicesAndDimsILb0ELb0ELb0ELb0EEEEEEEE_Li64ENS_4expt15ForallParamPackIJEEEEEvT_T1_.num_vgpr, 234
	.set _ZN4RAJA34launch_new_reduce_global_fcn_fixedIZN8rajaperf4apps8FEMSWEEP17runHipVariantImplILm64EEEvNS1_9VariantIDEEUlNS_14LaunchContextTINS_3hip33LaunchContextIndicesAndDimsPolicyINS7_14IndicesAndDimsILb0ELb0ELb0ELb0EEEEEEEE_Li64ENS_4expt15ForallParamPackIJEEEEEvT_T1_.num_agpr, 0
	.set _ZN4RAJA34launch_new_reduce_global_fcn_fixedIZN8rajaperf4apps8FEMSWEEP17runHipVariantImplILm64EEEvNS1_9VariantIDEEUlNS_14LaunchContextTINS_3hip33LaunchContextIndicesAndDimsPolicyINS7_14IndicesAndDimsILb0ELb0ELb0ELb0EEEEEEEE_Li64ENS_4expt15ForallParamPackIJEEEEEvT_T1_.numbered_sgpr, 54
	.set _ZN4RAJA34launch_new_reduce_global_fcn_fixedIZN8rajaperf4apps8FEMSWEEP17runHipVariantImplILm64EEEvNS1_9VariantIDEEUlNS_14LaunchContextTINS_3hip33LaunchContextIndicesAndDimsPolicyINS7_14IndicesAndDimsILb0ELb0ELb0ELb0EEEEEEEE_Li64ENS_4expt15ForallParamPackIJEEEEEvT_T1_.num_named_barrier, 0
	.set _ZN4RAJA34launch_new_reduce_global_fcn_fixedIZN8rajaperf4apps8FEMSWEEP17runHipVariantImplILm64EEEvNS1_9VariantIDEEUlNS_14LaunchContextTINS_3hip33LaunchContextIndicesAndDimsPolicyINS7_14IndicesAndDimsILb0ELb0ELb0ELb0EEEEEEEE_Li64ENS_4expt15ForallParamPackIJEEEEEvT_T1_.private_seg_size, 0
	.set _ZN4RAJA34launch_new_reduce_global_fcn_fixedIZN8rajaperf4apps8FEMSWEEP17runHipVariantImplILm64EEEvNS1_9VariantIDEEUlNS_14LaunchContextTINS_3hip33LaunchContextIndicesAndDimsPolicyINS7_14IndicesAndDimsILb0ELb0ELb0ELb0EEEEEEEE_Li64ENS_4expt15ForallParamPackIJEEEEEvT_T1_.uses_vcc, 1
	.set _ZN4RAJA34launch_new_reduce_global_fcn_fixedIZN8rajaperf4apps8FEMSWEEP17runHipVariantImplILm64EEEvNS1_9VariantIDEEUlNS_14LaunchContextTINS_3hip33LaunchContextIndicesAndDimsPolicyINS7_14IndicesAndDimsILb0ELb0ELb0ELb0EEEEEEEE_Li64ENS_4expt15ForallParamPackIJEEEEEvT_T1_.uses_flat_scratch, 0
	.set _ZN4RAJA34launch_new_reduce_global_fcn_fixedIZN8rajaperf4apps8FEMSWEEP17runHipVariantImplILm64EEEvNS1_9VariantIDEEUlNS_14LaunchContextTINS_3hip33LaunchContextIndicesAndDimsPolicyINS7_14IndicesAndDimsILb0ELb0ELb0ELb0EEEEEEEE_Li64ENS_4expt15ForallParamPackIJEEEEEvT_T1_.has_dyn_sized_stack, 0
	.set _ZN4RAJA34launch_new_reduce_global_fcn_fixedIZN8rajaperf4apps8FEMSWEEP17runHipVariantImplILm64EEEvNS1_9VariantIDEEUlNS_14LaunchContextTINS_3hip33LaunchContextIndicesAndDimsPolicyINS7_14IndicesAndDimsILb0ELb0ELb0ELb0EEEEEEEE_Li64ENS_4expt15ForallParamPackIJEEEEEvT_T1_.has_recursion, 0
	.set _ZN4RAJA34launch_new_reduce_global_fcn_fixedIZN8rajaperf4apps8FEMSWEEP17runHipVariantImplILm64EEEvNS1_9VariantIDEEUlNS_14LaunchContextTINS_3hip33LaunchContextIndicesAndDimsPolicyINS7_14IndicesAndDimsILb0ELb0ELb0ELb0EEEEEEEE_Li64ENS_4expt15ForallParamPackIJEEEEEvT_T1_.has_indirect_call, 0
	.section	.AMDGPU.csdata,"",@progbits
; Kernel info:
; codeLenInByte = 19024
; TotalNumSgprs: 56
; NumVgprs: 234
; ScratchSize: 0
; MemoryBound: 0
; FloatMode: 240
; IeeeMode: 1
; LDSByteSize: 0 bytes/workgroup (compile time only)
; SGPRBlocks: 0
; VGPRBlocks: 14
; NumSGPRsForWavesPerEU: 56
; NumVGPRsForWavesPerEU: 234
; NamedBarCnt: 0
; Occupancy: 4
; WaveLimiterHint : 1
; COMPUTE_PGM_RSRC2:SCRATCH_EN: 0
; COMPUTE_PGM_RSRC2:USER_SGPR: 2
; COMPUTE_PGM_RSRC2:TRAP_HANDLER: 0
; COMPUTE_PGM_RSRC2:TGID_X_EN: 1
; COMPUTE_PGM_RSRC2:TGID_Y_EN: 1
; COMPUTE_PGM_RSRC2:TGID_Z_EN: 0
; COMPUTE_PGM_RSRC2:TIDIG_COMP_CNT: 0
	.section	.AMDGPU.gpr_maximums,"",@progbits
	.set amdgpu.max_num_vgpr, 0
	.set amdgpu.max_num_agpr, 0
	.set amdgpu.max_num_sgpr, 0
	.section	.AMDGPU.csdata,"",@progbits
	.type	__hip_cuid_81f1f1d346699f96,@object ; @__hip_cuid_81f1f1d346699f96
	.section	.bss,"aw",@nobits
	.globl	__hip_cuid_81f1f1d346699f96
__hip_cuid_81f1f1d346699f96:
	.byte	0                               ; 0x0
	.size	__hip_cuid_81f1f1d346699f96, 1

	.ident	"AMD clang version 22.0.0git (https://github.com/RadeonOpenCompute/llvm-project roc-7.2.4 26084 f58b06dce1f9c15707c5f808fd002e18c2accf7e)"
	.section	".note.GNU-stack","",@progbits
	.addrsig
	.addrsig_sym __hip_cuid_81f1f1d346699f96
	.amdgpu_metadata
---
amdhsa.kernels:
  - .args:
      - .address_space:  global
        .offset:         0
        .size:           8
        .value_kind:     global_buffer
      - .address_space:  global
        .offset:         8
        .size:           8
        .value_kind:     global_buffer
      - .address_space:  global
        .offset:         16
        .size:           8
        .value_kind:     global_buffer
      - .address_space:  global
        .offset:         24
        .size:           8
        .value_kind:     global_buffer
      - .address_space:  global
        .offset:         32
        .size:           8
        .value_kind:     global_buffer
      - .address_space:  global
        .offset:         40
        .size:           8
        .value_kind:     global_buffer
      - .offset:         48
        .size:           8
        .value_kind:     by_value
      - .offset:         56
        .size:           8
        .value_kind:     by_value
      - .offset:         64
        .size:           8
        .value_kind:     by_value
      - .address_space:  global
        .offset:         72
        .size:           8
        .value_kind:     global_buffer
      - .address_space:  global
        .offset:         80
        .size:           8
        .value_kind:     global_buffer
      - .address_space:  global
        .offset:         88
        .size:           8
        .value_kind:     global_buffer
      - .address_space:  global
        .offset:         96
        .size:           8
        .value_kind:     global_buffer
      - .address_space:  global
        .offset:         104
        .size:           8
        .value_kind:     global_buffer
      - .address_space:  global
        .offset:         112
        .size:           8
        .value_kind:     global_buffer
      - .address_space:  global
        .offset:         120
        .size:           8
        .value_kind:     global_buffer
      - .address_space:  global
        .offset:         128
        .size:           8
        .value_kind:     global_buffer
      - .address_space:  global
        .offset:         136
        .size:           8
        .value_kind:     global_buffer
    .group_segment_fixed_size: 0
    .kernarg_segment_align: 8
    .kernarg_segment_size: 144
    .language:       OpenCL C
    .language_version:
      - 2
      - 0
    .max_flat_workgroup_size: 64
    .name:           _ZN8rajaperf4apps10FEMSweep3DILm64EEEvPdS2_S2_S2_S2_S2_lllPlS3_S3_S3_S3_S3_S3_S3_S3_
    .private_segment_fixed_size: 0
    .sgpr_count:     58
    .sgpr_spill_count: 0
    .symbol:         _ZN8rajaperf4apps10FEMSweep3DILm64EEEvPdS2_S2_S2_S2_S2_lllPlS3_S3_S3_S3_S3_S3_S3_S3_.kd
    .uniform_work_group_size: 1
    .uses_dynamic_stack: false
    .vgpr_count:     230
    .vgpr_spill_count: 0
    .wavefront_size: 32
  - .args:
      - .offset:         0
        .size:           152
        .value_kind:     by_value
      - .offset:         152
        .size:           1
        .value_kind:     by_value
    .group_segment_fixed_size: 0
    .kernarg_segment_align: 8
    .kernarg_segment_size: 156
    .language:       OpenCL C
    .language_version:
      - 2
      - 0
    .max_flat_workgroup_size: 64
    .name:           _ZN4RAJA34launch_new_reduce_global_fcn_fixedIZN8rajaperf4apps8FEMSWEEP17runHipVariantImplILm64EEEvNS1_9VariantIDEEUlNS_14LaunchContextTINS_3hip33LaunchContextIndicesAndDimsPolicyINS7_14IndicesAndDimsILb0ELb0ELb0ELb0EEEEEEEE_Li64ENS_4expt15ForallParamPackIJEEEEEvT_T1_
    .private_segment_fixed_size: 0
    .sgpr_count:     56
    .sgpr_spill_count: 0
    .symbol:         _ZN4RAJA34launch_new_reduce_global_fcn_fixedIZN8rajaperf4apps8FEMSWEEP17runHipVariantImplILm64EEEvNS1_9VariantIDEEUlNS_14LaunchContextTINS_3hip33LaunchContextIndicesAndDimsPolicyINS7_14IndicesAndDimsILb0ELb0ELb0ELb0EEEEEEEE_Li64ENS_4expt15ForallParamPackIJEEEEEvT_T1_.kd
    .uniform_work_group_size: 1
    .uses_dynamic_stack: false
    .vgpr_count:     234
    .vgpr_spill_count: 0
    .wavefront_size: 32
amdhsa.target:   amdgcn-amd-amdhsa--gfx1250
amdhsa.version:
  - 1
  - 2
...

	.end_amdgpu_metadata
